;; amdgpu-corpus repo=ROCm/rocPRIM kind=compiled arch=gfx906 opt=O3
	.amdgcn_target "amdgcn-amd-amdhsa--gfx906"
	.amdhsa_code_object_version 6
	.section	.text._Z14flat_id_kernelILj256ELj2ELj2EEvPj,"axG",@progbits,_Z14flat_id_kernelILj256ELj2ELj2EEvPj,comdat
	.protected	_Z14flat_id_kernelILj256ELj2ELj2EEvPj ; -- Begin function _Z14flat_id_kernelILj256ELj2ELj2EEvPj
	.globl	_Z14flat_id_kernelILj256ELj2ELj2EEvPj
	.p2align	8
	.type	_Z14flat_id_kernelILj256ELj2ELj2EEvPj,@function
_Z14flat_id_kernelILj256ELj2ELj2EEvPj:  ; @_Z14flat_id_kernelILj256ELj2ELj2EEvPj
; %bb.0:
	s_load_dword s2, s[4:5], 0x14
	s_load_dwordx2 s[0:1], s[4:5], 0x0
	s_waitcnt lgkmcnt(0)
	s_lshr_b32 s3, s2, 16
	s_and_b32 s2, s2, 0xffff
	v_mad_u32_u24 v1, v2, s3, v1
	v_mad_u64_u32 v[0:1], s[2:3], v1, s2, v[0:1]
	v_mov_b32_e32 v1, 0
	v_mov_b32_e32 v3, s1
	v_lshlrev_b64 v[1:2], 2, v[0:1]
	v_add_co_u32_e32 v1, vcc, s0, v1
	v_addc_co_u32_e32 v2, vcc, v3, v2, vcc
	global_store_dword v[1:2], v0, off
	s_endpgm
	.section	.rodata,"a",@progbits
	.p2align	6, 0x0
	.amdhsa_kernel _Z14flat_id_kernelILj256ELj2ELj2EEvPj
		.amdhsa_group_segment_fixed_size 0
		.amdhsa_private_segment_fixed_size 0
		.amdhsa_kernarg_size 264
		.amdhsa_user_sgpr_count 6
		.amdhsa_user_sgpr_private_segment_buffer 1
		.amdhsa_user_sgpr_dispatch_ptr 0
		.amdhsa_user_sgpr_queue_ptr 0
		.amdhsa_user_sgpr_kernarg_segment_ptr 1
		.amdhsa_user_sgpr_dispatch_id 0
		.amdhsa_user_sgpr_flat_scratch_init 0
		.amdhsa_user_sgpr_private_segment_size 0
		.amdhsa_uses_dynamic_stack 0
		.amdhsa_system_sgpr_private_segment_wavefront_offset 0
		.amdhsa_system_sgpr_workgroup_id_x 1
		.amdhsa_system_sgpr_workgroup_id_y 0
		.amdhsa_system_sgpr_workgroup_id_z 0
		.amdhsa_system_sgpr_workgroup_info 0
		.amdhsa_system_vgpr_workitem_id 2
		.amdhsa_next_free_vgpr 4
		.amdhsa_next_free_sgpr 6
		.amdhsa_reserve_vcc 1
		.amdhsa_reserve_flat_scratch 0
		.amdhsa_float_round_mode_32 0
		.amdhsa_float_round_mode_16_64 0
		.amdhsa_float_denorm_mode_32 3
		.amdhsa_float_denorm_mode_16_64 3
		.amdhsa_dx10_clamp 1
		.amdhsa_ieee_mode 1
		.amdhsa_fp16_overflow 0
		.amdhsa_exception_fp_ieee_invalid_op 0
		.amdhsa_exception_fp_denorm_src 0
		.amdhsa_exception_fp_ieee_div_zero 0
		.amdhsa_exception_fp_ieee_overflow 0
		.amdhsa_exception_fp_ieee_underflow 0
		.amdhsa_exception_fp_ieee_inexact 0
		.amdhsa_exception_int_div_zero 0
	.end_amdhsa_kernel
	.section	.text._Z14flat_id_kernelILj256ELj2ELj2EEvPj,"axG",@progbits,_Z14flat_id_kernelILj256ELj2ELj2EEvPj,comdat
.Lfunc_end0:
	.size	_Z14flat_id_kernelILj256ELj2ELj2EEvPj, .Lfunc_end0-_Z14flat_id_kernelILj256ELj2ELj2EEvPj
                                        ; -- End function
	.set _Z14flat_id_kernelILj256ELj2ELj2EEvPj.num_vgpr, 4
	.set _Z14flat_id_kernelILj256ELj2ELj2EEvPj.num_agpr, 0
	.set _Z14flat_id_kernelILj256ELj2ELj2EEvPj.numbered_sgpr, 6
	.set _Z14flat_id_kernelILj256ELj2ELj2EEvPj.num_named_barrier, 0
	.set _Z14flat_id_kernelILj256ELj2ELj2EEvPj.private_seg_size, 0
	.set _Z14flat_id_kernelILj256ELj2ELj2EEvPj.uses_vcc, 1
	.set _Z14flat_id_kernelILj256ELj2ELj2EEvPj.uses_flat_scratch, 0
	.set _Z14flat_id_kernelILj256ELj2ELj2EEvPj.has_dyn_sized_stack, 0
	.set _Z14flat_id_kernelILj256ELj2ELj2EEvPj.has_recursion, 0
	.set _Z14flat_id_kernelILj256ELj2ELj2EEvPj.has_indirect_call, 0
	.section	.AMDGPU.csdata,"",@progbits
; Kernel info:
; codeLenInByte = 84
; TotalNumSgprs: 10
; NumVgprs: 4
; ScratchSize: 0
; MemoryBound: 0
; FloatMode: 240
; IeeeMode: 1
; LDSByteSize: 0 bytes/workgroup (compile time only)
; SGPRBlocks: 1
; VGPRBlocks: 0
; NumSGPRsForWavesPerEU: 10
; NumVGPRsForWavesPerEU: 4
; Occupancy: 10
; WaveLimiterHint : 0
; COMPUTE_PGM_RSRC2:SCRATCH_EN: 0
; COMPUTE_PGM_RSRC2:USER_SGPR: 6
; COMPUTE_PGM_RSRC2:TRAP_HANDLER: 0
; COMPUTE_PGM_RSRC2:TGID_X_EN: 1
; COMPUTE_PGM_RSRC2:TGID_Y_EN: 0
; COMPUTE_PGM_RSRC2:TGID_Z_EN: 0
; COMPUTE_PGM_RSRC2:TIDIG_COMP_CNT: 2
	.section	.text._Z14flat_id_kernelILj128ELj2ELj2EEvPj,"axG",@progbits,_Z14flat_id_kernelILj128ELj2ELj2EEvPj,comdat
	.protected	_Z14flat_id_kernelILj128ELj2ELj2EEvPj ; -- Begin function _Z14flat_id_kernelILj128ELj2ELj2EEvPj
	.globl	_Z14flat_id_kernelILj128ELj2ELj2EEvPj
	.p2align	8
	.type	_Z14flat_id_kernelILj128ELj2ELj2EEvPj,@function
_Z14flat_id_kernelILj128ELj2ELj2EEvPj:  ; @_Z14flat_id_kernelILj128ELj2ELj2EEvPj
; %bb.0:
	s_load_dword s2, s[4:5], 0x14
	s_load_dwordx2 s[0:1], s[4:5], 0x0
	s_waitcnt lgkmcnt(0)
	s_lshr_b32 s3, s2, 16
	s_and_b32 s2, s2, 0xffff
	v_mad_u32_u24 v1, v2, s3, v1
	v_mad_u64_u32 v[0:1], s[2:3], v1, s2, v[0:1]
	v_mov_b32_e32 v1, 0
	v_mov_b32_e32 v3, s1
	v_lshlrev_b64 v[1:2], 2, v[0:1]
	v_add_co_u32_e32 v1, vcc, s0, v1
	v_addc_co_u32_e32 v2, vcc, v3, v2, vcc
	global_store_dword v[1:2], v0, off
	s_endpgm
	.section	.rodata,"a",@progbits
	.p2align	6, 0x0
	.amdhsa_kernel _Z14flat_id_kernelILj128ELj2ELj2EEvPj
		.amdhsa_group_segment_fixed_size 0
		.amdhsa_private_segment_fixed_size 0
		.amdhsa_kernarg_size 264
		.amdhsa_user_sgpr_count 6
		.amdhsa_user_sgpr_private_segment_buffer 1
		.amdhsa_user_sgpr_dispatch_ptr 0
		.amdhsa_user_sgpr_queue_ptr 0
		.amdhsa_user_sgpr_kernarg_segment_ptr 1
		.amdhsa_user_sgpr_dispatch_id 0
		.amdhsa_user_sgpr_flat_scratch_init 0
		.amdhsa_user_sgpr_private_segment_size 0
		.amdhsa_uses_dynamic_stack 0
		.amdhsa_system_sgpr_private_segment_wavefront_offset 0
		.amdhsa_system_sgpr_workgroup_id_x 1
		.amdhsa_system_sgpr_workgroup_id_y 0
		.amdhsa_system_sgpr_workgroup_id_z 0
		.amdhsa_system_sgpr_workgroup_info 0
		.amdhsa_system_vgpr_workitem_id 2
		.amdhsa_next_free_vgpr 4
		.amdhsa_next_free_sgpr 6
		.amdhsa_reserve_vcc 1
		.amdhsa_reserve_flat_scratch 0
		.amdhsa_float_round_mode_32 0
		.amdhsa_float_round_mode_16_64 0
		.amdhsa_float_denorm_mode_32 3
		.amdhsa_float_denorm_mode_16_64 3
		.amdhsa_dx10_clamp 1
		.amdhsa_ieee_mode 1
		.amdhsa_fp16_overflow 0
		.amdhsa_exception_fp_ieee_invalid_op 0
		.amdhsa_exception_fp_denorm_src 0
		.amdhsa_exception_fp_ieee_div_zero 0
		.amdhsa_exception_fp_ieee_overflow 0
		.amdhsa_exception_fp_ieee_underflow 0
		.amdhsa_exception_fp_ieee_inexact 0
		.amdhsa_exception_int_div_zero 0
	.end_amdhsa_kernel
	.section	.text._Z14flat_id_kernelILj128ELj2ELj2EEvPj,"axG",@progbits,_Z14flat_id_kernelILj128ELj2ELj2EEvPj,comdat
.Lfunc_end1:
	.size	_Z14flat_id_kernelILj128ELj2ELj2EEvPj, .Lfunc_end1-_Z14flat_id_kernelILj128ELj2ELj2EEvPj
                                        ; -- End function
	.set _Z14flat_id_kernelILj128ELj2ELj2EEvPj.num_vgpr, 4
	.set _Z14flat_id_kernelILj128ELj2ELj2EEvPj.num_agpr, 0
	.set _Z14flat_id_kernelILj128ELj2ELj2EEvPj.numbered_sgpr, 6
	.set _Z14flat_id_kernelILj128ELj2ELj2EEvPj.num_named_barrier, 0
	.set _Z14flat_id_kernelILj128ELj2ELj2EEvPj.private_seg_size, 0
	.set _Z14flat_id_kernelILj128ELj2ELj2EEvPj.uses_vcc, 1
	.set _Z14flat_id_kernelILj128ELj2ELj2EEvPj.uses_flat_scratch, 0
	.set _Z14flat_id_kernelILj128ELj2ELj2EEvPj.has_dyn_sized_stack, 0
	.set _Z14flat_id_kernelILj128ELj2ELj2EEvPj.has_recursion, 0
	.set _Z14flat_id_kernelILj128ELj2ELj2EEvPj.has_indirect_call, 0
	.section	.AMDGPU.csdata,"",@progbits
; Kernel info:
; codeLenInByte = 84
; TotalNumSgprs: 10
; NumVgprs: 4
; ScratchSize: 0
; MemoryBound: 0
; FloatMode: 240
; IeeeMode: 1
; LDSByteSize: 0 bytes/workgroup (compile time only)
; SGPRBlocks: 1
; VGPRBlocks: 0
; NumSGPRsForWavesPerEU: 10
; NumVGPRsForWavesPerEU: 4
; Occupancy: 10
; WaveLimiterHint : 0
; COMPUTE_PGM_RSRC2:SCRATCH_EN: 0
; COMPUTE_PGM_RSRC2:USER_SGPR: 6
; COMPUTE_PGM_RSRC2:TRAP_HANDLER: 0
; COMPUTE_PGM_RSRC2:TGID_X_EN: 1
; COMPUTE_PGM_RSRC2:TGID_Y_EN: 0
; COMPUTE_PGM_RSRC2:TGID_Z_EN: 0
; COMPUTE_PGM_RSRC2:TIDIG_COMP_CNT: 2
	.section	.text._Z14flat_id_kernelILj64ELj2ELj2EEvPj,"axG",@progbits,_Z14flat_id_kernelILj64ELj2ELj2EEvPj,comdat
	.protected	_Z14flat_id_kernelILj64ELj2ELj2EEvPj ; -- Begin function _Z14flat_id_kernelILj64ELj2ELj2EEvPj
	.globl	_Z14flat_id_kernelILj64ELj2ELj2EEvPj
	.p2align	8
	.type	_Z14flat_id_kernelILj64ELj2ELj2EEvPj,@function
_Z14flat_id_kernelILj64ELj2ELj2EEvPj:   ; @_Z14flat_id_kernelILj64ELj2ELj2EEvPj
; %bb.0:
	s_load_dword s2, s[4:5], 0x14
	s_load_dwordx2 s[0:1], s[4:5], 0x0
	s_waitcnt lgkmcnt(0)
	s_lshr_b32 s3, s2, 16
	s_and_b32 s2, s2, 0xffff
	v_mad_u32_u24 v1, v2, s3, v1
	v_mad_u64_u32 v[0:1], s[2:3], v1, s2, v[0:1]
	v_mov_b32_e32 v1, 0
	v_mov_b32_e32 v3, s1
	v_lshlrev_b64 v[1:2], 2, v[0:1]
	v_add_co_u32_e32 v1, vcc, s0, v1
	v_addc_co_u32_e32 v2, vcc, v3, v2, vcc
	global_store_dword v[1:2], v0, off
	s_endpgm
	.section	.rodata,"a",@progbits
	.p2align	6, 0x0
	.amdhsa_kernel _Z14flat_id_kernelILj64ELj2ELj2EEvPj
		.amdhsa_group_segment_fixed_size 0
		.amdhsa_private_segment_fixed_size 0
		.amdhsa_kernarg_size 264
		.amdhsa_user_sgpr_count 6
		.amdhsa_user_sgpr_private_segment_buffer 1
		.amdhsa_user_sgpr_dispatch_ptr 0
		.amdhsa_user_sgpr_queue_ptr 0
		.amdhsa_user_sgpr_kernarg_segment_ptr 1
		.amdhsa_user_sgpr_dispatch_id 0
		.amdhsa_user_sgpr_flat_scratch_init 0
		.amdhsa_user_sgpr_private_segment_size 0
		.amdhsa_uses_dynamic_stack 0
		.amdhsa_system_sgpr_private_segment_wavefront_offset 0
		.amdhsa_system_sgpr_workgroup_id_x 1
		.amdhsa_system_sgpr_workgroup_id_y 0
		.amdhsa_system_sgpr_workgroup_id_z 0
		.amdhsa_system_sgpr_workgroup_info 0
		.amdhsa_system_vgpr_workitem_id 2
		.amdhsa_next_free_vgpr 4
		.amdhsa_next_free_sgpr 6
		.amdhsa_reserve_vcc 1
		.amdhsa_reserve_flat_scratch 0
		.amdhsa_float_round_mode_32 0
		.amdhsa_float_round_mode_16_64 0
		.amdhsa_float_denorm_mode_32 3
		.amdhsa_float_denorm_mode_16_64 3
		.amdhsa_dx10_clamp 1
		.amdhsa_ieee_mode 1
		.amdhsa_fp16_overflow 0
		.amdhsa_exception_fp_ieee_invalid_op 0
		.amdhsa_exception_fp_denorm_src 0
		.amdhsa_exception_fp_ieee_div_zero 0
		.amdhsa_exception_fp_ieee_overflow 0
		.amdhsa_exception_fp_ieee_underflow 0
		.amdhsa_exception_fp_ieee_inexact 0
		.amdhsa_exception_int_div_zero 0
	.end_amdhsa_kernel
	.section	.text._Z14flat_id_kernelILj64ELj2ELj2EEvPj,"axG",@progbits,_Z14flat_id_kernelILj64ELj2ELj2EEvPj,comdat
.Lfunc_end2:
	.size	_Z14flat_id_kernelILj64ELj2ELj2EEvPj, .Lfunc_end2-_Z14flat_id_kernelILj64ELj2ELj2EEvPj
                                        ; -- End function
	.set _Z14flat_id_kernelILj64ELj2ELj2EEvPj.num_vgpr, 4
	.set _Z14flat_id_kernelILj64ELj2ELj2EEvPj.num_agpr, 0
	.set _Z14flat_id_kernelILj64ELj2ELj2EEvPj.numbered_sgpr, 6
	.set _Z14flat_id_kernelILj64ELj2ELj2EEvPj.num_named_barrier, 0
	.set _Z14flat_id_kernelILj64ELj2ELj2EEvPj.private_seg_size, 0
	.set _Z14flat_id_kernelILj64ELj2ELj2EEvPj.uses_vcc, 1
	.set _Z14flat_id_kernelILj64ELj2ELj2EEvPj.uses_flat_scratch, 0
	.set _Z14flat_id_kernelILj64ELj2ELj2EEvPj.has_dyn_sized_stack, 0
	.set _Z14flat_id_kernelILj64ELj2ELj2EEvPj.has_recursion, 0
	.set _Z14flat_id_kernelILj64ELj2ELj2EEvPj.has_indirect_call, 0
	.section	.AMDGPU.csdata,"",@progbits
; Kernel info:
; codeLenInByte = 84
; TotalNumSgprs: 10
; NumVgprs: 4
; ScratchSize: 0
; MemoryBound: 0
; FloatMode: 240
; IeeeMode: 1
; LDSByteSize: 0 bytes/workgroup (compile time only)
; SGPRBlocks: 1
; VGPRBlocks: 0
; NumSGPRsForWavesPerEU: 10
; NumVGPRsForWavesPerEU: 4
; Occupancy: 10
; WaveLimiterHint : 0
; COMPUTE_PGM_RSRC2:SCRATCH_EN: 0
; COMPUTE_PGM_RSRC2:USER_SGPR: 6
; COMPUTE_PGM_RSRC2:TRAP_HANDLER: 0
; COMPUTE_PGM_RSRC2:TGID_X_EN: 1
; COMPUTE_PGM_RSRC2:TGID_Y_EN: 0
; COMPUTE_PGM_RSRC2:TGID_Z_EN: 0
; COMPUTE_PGM_RSRC2:TIDIG_COMP_CNT: 2
	.section	.text._Z14flat_id_kernelILj32ELj2ELj2EEvPj,"axG",@progbits,_Z14flat_id_kernelILj32ELj2ELj2EEvPj,comdat
	.protected	_Z14flat_id_kernelILj32ELj2ELj2EEvPj ; -- Begin function _Z14flat_id_kernelILj32ELj2ELj2EEvPj
	.globl	_Z14flat_id_kernelILj32ELj2ELj2EEvPj
	.p2align	8
	.type	_Z14flat_id_kernelILj32ELj2ELj2EEvPj,@function
_Z14flat_id_kernelILj32ELj2ELj2EEvPj:   ; @_Z14flat_id_kernelILj32ELj2ELj2EEvPj
; %bb.0:
	s_load_dword s2, s[4:5], 0x14
	s_load_dwordx2 s[0:1], s[4:5], 0x0
	s_waitcnt lgkmcnt(0)
	s_lshr_b32 s3, s2, 16
	s_and_b32 s2, s2, 0xffff
	v_mad_u32_u24 v1, v2, s3, v1
	v_mad_u64_u32 v[0:1], s[2:3], v1, s2, v[0:1]
	v_mov_b32_e32 v1, 0
	v_mov_b32_e32 v3, s1
	v_lshlrev_b64 v[1:2], 2, v[0:1]
	v_add_co_u32_e32 v1, vcc, s0, v1
	v_addc_co_u32_e32 v2, vcc, v3, v2, vcc
	global_store_dword v[1:2], v0, off
	s_endpgm
	.section	.rodata,"a",@progbits
	.p2align	6, 0x0
	.amdhsa_kernel _Z14flat_id_kernelILj32ELj2ELj2EEvPj
		.amdhsa_group_segment_fixed_size 0
		.amdhsa_private_segment_fixed_size 0
		.amdhsa_kernarg_size 264
		.amdhsa_user_sgpr_count 6
		.amdhsa_user_sgpr_private_segment_buffer 1
		.amdhsa_user_sgpr_dispatch_ptr 0
		.amdhsa_user_sgpr_queue_ptr 0
		.amdhsa_user_sgpr_kernarg_segment_ptr 1
		.amdhsa_user_sgpr_dispatch_id 0
		.amdhsa_user_sgpr_flat_scratch_init 0
		.amdhsa_user_sgpr_private_segment_size 0
		.amdhsa_uses_dynamic_stack 0
		.amdhsa_system_sgpr_private_segment_wavefront_offset 0
		.amdhsa_system_sgpr_workgroup_id_x 1
		.amdhsa_system_sgpr_workgroup_id_y 0
		.amdhsa_system_sgpr_workgroup_id_z 0
		.amdhsa_system_sgpr_workgroup_info 0
		.amdhsa_system_vgpr_workitem_id 2
		.amdhsa_next_free_vgpr 4
		.amdhsa_next_free_sgpr 6
		.amdhsa_reserve_vcc 1
		.amdhsa_reserve_flat_scratch 0
		.amdhsa_float_round_mode_32 0
		.amdhsa_float_round_mode_16_64 0
		.amdhsa_float_denorm_mode_32 3
		.amdhsa_float_denorm_mode_16_64 3
		.amdhsa_dx10_clamp 1
		.amdhsa_ieee_mode 1
		.amdhsa_fp16_overflow 0
		.amdhsa_exception_fp_ieee_invalid_op 0
		.amdhsa_exception_fp_denorm_src 0
		.amdhsa_exception_fp_ieee_div_zero 0
		.amdhsa_exception_fp_ieee_overflow 0
		.amdhsa_exception_fp_ieee_underflow 0
		.amdhsa_exception_fp_ieee_inexact 0
		.amdhsa_exception_int_div_zero 0
	.end_amdhsa_kernel
	.section	.text._Z14flat_id_kernelILj32ELj2ELj2EEvPj,"axG",@progbits,_Z14flat_id_kernelILj32ELj2ELj2EEvPj,comdat
.Lfunc_end3:
	.size	_Z14flat_id_kernelILj32ELj2ELj2EEvPj, .Lfunc_end3-_Z14flat_id_kernelILj32ELj2ELj2EEvPj
                                        ; -- End function
	.set _Z14flat_id_kernelILj32ELj2ELj2EEvPj.num_vgpr, 4
	.set _Z14flat_id_kernelILj32ELj2ELj2EEvPj.num_agpr, 0
	.set _Z14flat_id_kernelILj32ELj2ELj2EEvPj.numbered_sgpr, 6
	.set _Z14flat_id_kernelILj32ELj2ELj2EEvPj.num_named_barrier, 0
	.set _Z14flat_id_kernelILj32ELj2ELj2EEvPj.private_seg_size, 0
	.set _Z14flat_id_kernelILj32ELj2ELj2EEvPj.uses_vcc, 1
	.set _Z14flat_id_kernelILj32ELj2ELj2EEvPj.uses_flat_scratch, 0
	.set _Z14flat_id_kernelILj32ELj2ELj2EEvPj.has_dyn_sized_stack, 0
	.set _Z14flat_id_kernelILj32ELj2ELj2EEvPj.has_recursion, 0
	.set _Z14flat_id_kernelILj32ELj2ELj2EEvPj.has_indirect_call, 0
	.section	.AMDGPU.csdata,"",@progbits
; Kernel info:
; codeLenInByte = 84
; TotalNumSgprs: 10
; NumVgprs: 4
; ScratchSize: 0
; MemoryBound: 0
; FloatMode: 240
; IeeeMode: 1
; LDSByteSize: 0 bytes/workgroup (compile time only)
; SGPRBlocks: 1
; VGPRBlocks: 0
; NumSGPRsForWavesPerEU: 10
; NumVGPRsForWavesPerEU: 4
; Occupancy: 10
; WaveLimiterHint : 0
; COMPUTE_PGM_RSRC2:SCRATCH_EN: 0
; COMPUTE_PGM_RSRC2:USER_SGPR: 6
; COMPUTE_PGM_RSRC2:TRAP_HANDLER: 0
; COMPUTE_PGM_RSRC2:TGID_X_EN: 1
; COMPUTE_PGM_RSRC2:TGID_Y_EN: 0
; COMPUTE_PGM_RSRC2:TGID_Z_EN: 0
; COMPUTE_PGM_RSRC2:TIDIG_COMP_CNT: 2
	.section	.text._Z14flat_id_kernelILj16ELj2ELj2EEvPj,"axG",@progbits,_Z14flat_id_kernelILj16ELj2ELj2EEvPj,comdat
	.protected	_Z14flat_id_kernelILj16ELj2ELj2EEvPj ; -- Begin function _Z14flat_id_kernelILj16ELj2ELj2EEvPj
	.globl	_Z14flat_id_kernelILj16ELj2ELj2EEvPj
	.p2align	8
	.type	_Z14flat_id_kernelILj16ELj2ELj2EEvPj,@function
_Z14flat_id_kernelILj16ELj2ELj2EEvPj:   ; @_Z14flat_id_kernelILj16ELj2ELj2EEvPj
; %bb.0:
	s_load_dword s2, s[4:5], 0x14
	s_load_dwordx2 s[0:1], s[4:5], 0x0
	s_waitcnt lgkmcnt(0)
	s_lshr_b32 s3, s2, 16
	s_and_b32 s2, s2, 0xffff
	v_mad_u32_u24 v1, v2, s3, v1
	v_mad_u64_u32 v[0:1], s[2:3], v1, s2, v[0:1]
	v_mov_b32_e32 v1, 0
	v_mov_b32_e32 v3, s1
	v_lshlrev_b64 v[1:2], 2, v[0:1]
	v_add_co_u32_e32 v1, vcc, s0, v1
	v_addc_co_u32_e32 v2, vcc, v3, v2, vcc
	global_store_dword v[1:2], v0, off
	s_endpgm
	.section	.rodata,"a",@progbits
	.p2align	6, 0x0
	.amdhsa_kernel _Z14flat_id_kernelILj16ELj2ELj2EEvPj
		.amdhsa_group_segment_fixed_size 0
		.amdhsa_private_segment_fixed_size 0
		.amdhsa_kernarg_size 264
		.amdhsa_user_sgpr_count 6
		.amdhsa_user_sgpr_private_segment_buffer 1
		.amdhsa_user_sgpr_dispatch_ptr 0
		.amdhsa_user_sgpr_queue_ptr 0
		.amdhsa_user_sgpr_kernarg_segment_ptr 1
		.amdhsa_user_sgpr_dispatch_id 0
		.amdhsa_user_sgpr_flat_scratch_init 0
		.amdhsa_user_sgpr_private_segment_size 0
		.amdhsa_uses_dynamic_stack 0
		.amdhsa_system_sgpr_private_segment_wavefront_offset 0
		.amdhsa_system_sgpr_workgroup_id_x 1
		.amdhsa_system_sgpr_workgroup_id_y 0
		.amdhsa_system_sgpr_workgroup_id_z 0
		.amdhsa_system_sgpr_workgroup_info 0
		.amdhsa_system_vgpr_workitem_id 2
		.amdhsa_next_free_vgpr 4
		.amdhsa_next_free_sgpr 6
		.amdhsa_reserve_vcc 1
		.amdhsa_reserve_flat_scratch 0
		.amdhsa_float_round_mode_32 0
		.amdhsa_float_round_mode_16_64 0
		.amdhsa_float_denorm_mode_32 3
		.amdhsa_float_denorm_mode_16_64 3
		.amdhsa_dx10_clamp 1
		.amdhsa_ieee_mode 1
		.amdhsa_fp16_overflow 0
		.amdhsa_exception_fp_ieee_invalid_op 0
		.amdhsa_exception_fp_denorm_src 0
		.amdhsa_exception_fp_ieee_div_zero 0
		.amdhsa_exception_fp_ieee_overflow 0
		.amdhsa_exception_fp_ieee_underflow 0
		.amdhsa_exception_fp_ieee_inexact 0
		.amdhsa_exception_int_div_zero 0
	.end_amdhsa_kernel
	.section	.text._Z14flat_id_kernelILj16ELj2ELj2EEvPj,"axG",@progbits,_Z14flat_id_kernelILj16ELj2ELj2EEvPj,comdat
.Lfunc_end4:
	.size	_Z14flat_id_kernelILj16ELj2ELj2EEvPj, .Lfunc_end4-_Z14flat_id_kernelILj16ELj2ELj2EEvPj
                                        ; -- End function
	.set _Z14flat_id_kernelILj16ELj2ELj2EEvPj.num_vgpr, 4
	.set _Z14flat_id_kernelILj16ELj2ELj2EEvPj.num_agpr, 0
	.set _Z14flat_id_kernelILj16ELj2ELj2EEvPj.numbered_sgpr, 6
	.set _Z14flat_id_kernelILj16ELj2ELj2EEvPj.num_named_barrier, 0
	.set _Z14flat_id_kernelILj16ELj2ELj2EEvPj.private_seg_size, 0
	.set _Z14flat_id_kernelILj16ELj2ELj2EEvPj.uses_vcc, 1
	.set _Z14flat_id_kernelILj16ELj2ELj2EEvPj.uses_flat_scratch, 0
	.set _Z14flat_id_kernelILj16ELj2ELj2EEvPj.has_dyn_sized_stack, 0
	.set _Z14flat_id_kernelILj16ELj2ELj2EEvPj.has_recursion, 0
	.set _Z14flat_id_kernelILj16ELj2ELj2EEvPj.has_indirect_call, 0
	.section	.AMDGPU.csdata,"",@progbits
; Kernel info:
; codeLenInByte = 84
; TotalNumSgprs: 10
; NumVgprs: 4
; ScratchSize: 0
; MemoryBound: 0
; FloatMode: 240
; IeeeMode: 1
; LDSByteSize: 0 bytes/workgroup (compile time only)
; SGPRBlocks: 1
; VGPRBlocks: 0
; NumSGPRsForWavesPerEU: 10
; NumVGPRsForWavesPerEU: 4
; Occupancy: 10
; WaveLimiterHint : 0
; COMPUTE_PGM_RSRC2:SCRATCH_EN: 0
; COMPUTE_PGM_RSRC2:USER_SGPR: 6
; COMPUTE_PGM_RSRC2:TRAP_HANDLER: 0
; COMPUTE_PGM_RSRC2:TGID_X_EN: 1
; COMPUTE_PGM_RSRC2:TGID_Y_EN: 0
; COMPUTE_PGM_RSRC2:TGID_Z_EN: 0
; COMPUTE_PGM_RSRC2:TIDIG_COMP_CNT: 2
	.section	.text._Z14flat_id_kernelILj8ELj2ELj2EEvPj,"axG",@progbits,_Z14flat_id_kernelILj8ELj2ELj2EEvPj,comdat
	.protected	_Z14flat_id_kernelILj8ELj2ELj2EEvPj ; -- Begin function _Z14flat_id_kernelILj8ELj2ELj2EEvPj
	.globl	_Z14flat_id_kernelILj8ELj2ELj2EEvPj
	.p2align	8
	.type	_Z14flat_id_kernelILj8ELj2ELj2EEvPj,@function
_Z14flat_id_kernelILj8ELj2ELj2EEvPj:    ; @_Z14flat_id_kernelILj8ELj2ELj2EEvPj
; %bb.0:
	s_load_dword s2, s[4:5], 0x14
	s_load_dwordx2 s[0:1], s[4:5], 0x0
	s_waitcnt lgkmcnt(0)
	s_lshr_b32 s3, s2, 16
	s_and_b32 s2, s2, 0xffff
	v_mad_u32_u24 v1, v2, s3, v1
	v_mad_u64_u32 v[0:1], s[2:3], v1, s2, v[0:1]
	v_mov_b32_e32 v1, 0
	v_mov_b32_e32 v3, s1
	v_lshlrev_b64 v[1:2], 2, v[0:1]
	v_add_co_u32_e32 v1, vcc, s0, v1
	v_addc_co_u32_e32 v2, vcc, v3, v2, vcc
	global_store_dword v[1:2], v0, off
	s_endpgm
	.section	.rodata,"a",@progbits
	.p2align	6, 0x0
	.amdhsa_kernel _Z14flat_id_kernelILj8ELj2ELj2EEvPj
		.amdhsa_group_segment_fixed_size 0
		.amdhsa_private_segment_fixed_size 0
		.amdhsa_kernarg_size 264
		.amdhsa_user_sgpr_count 6
		.amdhsa_user_sgpr_private_segment_buffer 1
		.amdhsa_user_sgpr_dispatch_ptr 0
		.amdhsa_user_sgpr_queue_ptr 0
		.amdhsa_user_sgpr_kernarg_segment_ptr 1
		.amdhsa_user_sgpr_dispatch_id 0
		.amdhsa_user_sgpr_flat_scratch_init 0
		.amdhsa_user_sgpr_private_segment_size 0
		.amdhsa_uses_dynamic_stack 0
		.amdhsa_system_sgpr_private_segment_wavefront_offset 0
		.amdhsa_system_sgpr_workgroup_id_x 1
		.amdhsa_system_sgpr_workgroup_id_y 0
		.amdhsa_system_sgpr_workgroup_id_z 0
		.amdhsa_system_sgpr_workgroup_info 0
		.amdhsa_system_vgpr_workitem_id 2
		.amdhsa_next_free_vgpr 4
		.amdhsa_next_free_sgpr 6
		.amdhsa_reserve_vcc 1
		.amdhsa_reserve_flat_scratch 0
		.amdhsa_float_round_mode_32 0
		.amdhsa_float_round_mode_16_64 0
		.amdhsa_float_denorm_mode_32 3
		.amdhsa_float_denorm_mode_16_64 3
		.amdhsa_dx10_clamp 1
		.amdhsa_ieee_mode 1
		.amdhsa_fp16_overflow 0
		.amdhsa_exception_fp_ieee_invalid_op 0
		.amdhsa_exception_fp_denorm_src 0
		.amdhsa_exception_fp_ieee_div_zero 0
		.amdhsa_exception_fp_ieee_overflow 0
		.amdhsa_exception_fp_ieee_underflow 0
		.amdhsa_exception_fp_ieee_inexact 0
		.amdhsa_exception_int_div_zero 0
	.end_amdhsa_kernel
	.section	.text._Z14flat_id_kernelILj8ELj2ELj2EEvPj,"axG",@progbits,_Z14flat_id_kernelILj8ELj2ELj2EEvPj,comdat
.Lfunc_end5:
	.size	_Z14flat_id_kernelILj8ELj2ELj2EEvPj, .Lfunc_end5-_Z14flat_id_kernelILj8ELj2ELj2EEvPj
                                        ; -- End function
	.set _Z14flat_id_kernelILj8ELj2ELj2EEvPj.num_vgpr, 4
	.set _Z14flat_id_kernelILj8ELj2ELj2EEvPj.num_agpr, 0
	.set _Z14flat_id_kernelILj8ELj2ELj2EEvPj.numbered_sgpr, 6
	.set _Z14flat_id_kernelILj8ELj2ELj2EEvPj.num_named_barrier, 0
	.set _Z14flat_id_kernelILj8ELj2ELj2EEvPj.private_seg_size, 0
	.set _Z14flat_id_kernelILj8ELj2ELj2EEvPj.uses_vcc, 1
	.set _Z14flat_id_kernelILj8ELj2ELj2EEvPj.uses_flat_scratch, 0
	.set _Z14flat_id_kernelILj8ELj2ELj2EEvPj.has_dyn_sized_stack, 0
	.set _Z14flat_id_kernelILj8ELj2ELj2EEvPj.has_recursion, 0
	.set _Z14flat_id_kernelILj8ELj2ELj2EEvPj.has_indirect_call, 0
	.section	.AMDGPU.csdata,"",@progbits
; Kernel info:
; codeLenInByte = 84
; TotalNumSgprs: 10
; NumVgprs: 4
; ScratchSize: 0
; MemoryBound: 0
; FloatMode: 240
; IeeeMode: 1
; LDSByteSize: 0 bytes/workgroup (compile time only)
; SGPRBlocks: 1
; VGPRBlocks: 0
; NumSGPRsForWavesPerEU: 10
; NumVGPRsForWavesPerEU: 4
; Occupancy: 10
; WaveLimiterHint : 0
; COMPUTE_PGM_RSRC2:SCRATCH_EN: 0
; COMPUTE_PGM_RSRC2:USER_SGPR: 6
; COMPUTE_PGM_RSRC2:TRAP_HANDLER: 0
; COMPUTE_PGM_RSRC2:TGID_X_EN: 1
; COMPUTE_PGM_RSRC2:TGID_Y_EN: 0
; COMPUTE_PGM_RSRC2:TGID_Z_EN: 0
; COMPUTE_PGM_RSRC2:TIDIG_COMP_CNT: 2
	.section	.text._Z14flat_id_kernelILj512ELj2ELj1EEvPj,"axG",@progbits,_Z14flat_id_kernelILj512ELj2ELj1EEvPj,comdat
	.protected	_Z14flat_id_kernelILj512ELj2ELj1EEvPj ; -- Begin function _Z14flat_id_kernelILj512ELj2ELj1EEvPj
	.globl	_Z14flat_id_kernelILj512ELj2ELj1EEvPj
	.p2align	8
	.type	_Z14flat_id_kernelILj512ELj2ELj1EEvPj,@function
_Z14flat_id_kernelILj512ELj2ELj1EEvPj:  ; @_Z14flat_id_kernelILj512ELj2ELj1EEvPj
; %bb.0:
	s_load_dword s2, s[4:5], 0x14
	s_load_dwordx2 s[0:1], s[4:5], 0x0
	s_waitcnt lgkmcnt(0)
	s_and_b32 s2, s2, 0xffff
	v_mad_u32_u24 v0, v1, s2, v0
	v_lshlrev_b32_e32 v1, 2, v0
	global_store_dword v1, v0, s[0:1]
	s_endpgm
	.section	.rodata,"a",@progbits
	.p2align	6, 0x0
	.amdhsa_kernel _Z14flat_id_kernelILj512ELj2ELj1EEvPj
		.amdhsa_group_segment_fixed_size 0
		.amdhsa_private_segment_fixed_size 0
		.amdhsa_kernarg_size 264
		.amdhsa_user_sgpr_count 6
		.amdhsa_user_sgpr_private_segment_buffer 1
		.amdhsa_user_sgpr_dispatch_ptr 0
		.amdhsa_user_sgpr_queue_ptr 0
		.amdhsa_user_sgpr_kernarg_segment_ptr 1
		.amdhsa_user_sgpr_dispatch_id 0
		.amdhsa_user_sgpr_flat_scratch_init 0
		.amdhsa_user_sgpr_private_segment_size 0
		.amdhsa_uses_dynamic_stack 0
		.amdhsa_system_sgpr_private_segment_wavefront_offset 0
		.amdhsa_system_sgpr_workgroup_id_x 1
		.amdhsa_system_sgpr_workgroup_id_y 0
		.amdhsa_system_sgpr_workgroup_id_z 0
		.amdhsa_system_sgpr_workgroup_info 0
		.amdhsa_system_vgpr_workitem_id 1
		.amdhsa_next_free_vgpr 2
		.amdhsa_next_free_sgpr 6
		.amdhsa_reserve_vcc 0
		.amdhsa_reserve_flat_scratch 0
		.amdhsa_float_round_mode_32 0
		.amdhsa_float_round_mode_16_64 0
		.amdhsa_float_denorm_mode_32 3
		.amdhsa_float_denorm_mode_16_64 3
		.amdhsa_dx10_clamp 1
		.amdhsa_ieee_mode 1
		.amdhsa_fp16_overflow 0
		.amdhsa_exception_fp_ieee_invalid_op 0
		.amdhsa_exception_fp_denorm_src 0
		.amdhsa_exception_fp_ieee_div_zero 0
		.amdhsa_exception_fp_ieee_overflow 0
		.amdhsa_exception_fp_ieee_underflow 0
		.amdhsa_exception_fp_ieee_inexact 0
		.amdhsa_exception_int_div_zero 0
	.end_amdhsa_kernel
	.section	.text._Z14flat_id_kernelILj512ELj2ELj1EEvPj,"axG",@progbits,_Z14flat_id_kernelILj512ELj2ELj1EEvPj,comdat
.Lfunc_end6:
	.size	_Z14flat_id_kernelILj512ELj2ELj1EEvPj, .Lfunc_end6-_Z14flat_id_kernelILj512ELj2ELj1EEvPj
                                        ; -- End function
	.set _Z14flat_id_kernelILj512ELj2ELj1EEvPj.num_vgpr, 2
	.set _Z14flat_id_kernelILj512ELj2ELj1EEvPj.num_agpr, 0
	.set _Z14flat_id_kernelILj512ELj2ELj1EEvPj.numbered_sgpr, 6
	.set _Z14flat_id_kernelILj512ELj2ELj1EEvPj.num_named_barrier, 0
	.set _Z14flat_id_kernelILj512ELj2ELj1EEvPj.private_seg_size, 0
	.set _Z14flat_id_kernelILj512ELj2ELj1EEvPj.uses_vcc, 0
	.set _Z14flat_id_kernelILj512ELj2ELj1EEvPj.uses_flat_scratch, 0
	.set _Z14flat_id_kernelILj512ELj2ELj1EEvPj.has_dyn_sized_stack, 0
	.set _Z14flat_id_kernelILj512ELj2ELj1EEvPj.has_recursion, 0
	.set _Z14flat_id_kernelILj512ELj2ELj1EEvPj.has_indirect_call, 0
	.section	.AMDGPU.csdata,"",@progbits
; Kernel info:
; codeLenInByte = 52
; TotalNumSgprs: 10
; NumVgprs: 2
; ScratchSize: 0
; MemoryBound: 0
; FloatMode: 240
; IeeeMode: 1
; LDSByteSize: 0 bytes/workgroup (compile time only)
; SGPRBlocks: 1
; VGPRBlocks: 0
; NumSGPRsForWavesPerEU: 10
; NumVGPRsForWavesPerEU: 2
; Occupancy: 10
; WaveLimiterHint : 0
; COMPUTE_PGM_RSRC2:SCRATCH_EN: 0
; COMPUTE_PGM_RSRC2:USER_SGPR: 6
; COMPUTE_PGM_RSRC2:TRAP_HANDLER: 0
; COMPUTE_PGM_RSRC2:TGID_X_EN: 1
; COMPUTE_PGM_RSRC2:TGID_Y_EN: 0
; COMPUTE_PGM_RSRC2:TGID_Z_EN: 0
; COMPUTE_PGM_RSRC2:TIDIG_COMP_CNT: 1
	.section	.text._Z14flat_id_kernelILj256ELj2ELj1EEvPj,"axG",@progbits,_Z14flat_id_kernelILj256ELj2ELj1EEvPj,comdat
	.protected	_Z14flat_id_kernelILj256ELj2ELj1EEvPj ; -- Begin function _Z14flat_id_kernelILj256ELj2ELj1EEvPj
	.globl	_Z14flat_id_kernelILj256ELj2ELj1EEvPj
	.p2align	8
	.type	_Z14flat_id_kernelILj256ELj2ELj1EEvPj,@function
_Z14flat_id_kernelILj256ELj2ELj1EEvPj:  ; @_Z14flat_id_kernelILj256ELj2ELj1EEvPj
; %bb.0:
	s_load_dword s2, s[4:5], 0x14
	s_load_dwordx2 s[0:1], s[4:5], 0x0
	s_waitcnt lgkmcnt(0)
	s_and_b32 s2, s2, 0xffff
	v_mad_u32_u24 v0, v1, s2, v0
	v_lshlrev_b32_e32 v1, 2, v0
	global_store_dword v1, v0, s[0:1]
	s_endpgm
	.section	.rodata,"a",@progbits
	.p2align	6, 0x0
	.amdhsa_kernel _Z14flat_id_kernelILj256ELj2ELj1EEvPj
		.amdhsa_group_segment_fixed_size 0
		.amdhsa_private_segment_fixed_size 0
		.amdhsa_kernarg_size 264
		.amdhsa_user_sgpr_count 6
		.amdhsa_user_sgpr_private_segment_buffer 1
		.amdhsa_user_sgpr_dispatch_ptr 0
		.amdhsa_user_sgpr_queue_ptr 0
		.amdhsa_user_sgpr_kernarg_segment_ptr 1
		.amdhsa_user_sgpr_dispatch_id 0
		.amdhsa_user_sgpr_flat_scratch_init 0
		.amdhsa_user_sgpr_private_segment_size 0
		.amdhsa_uses_dynamic_stack 0
		.amdhsa_system_sgpr_private_segment_wavefront_offset 0
		.amdhsa_system_sgpr_workgroup_id_x 1
		.amdhsa_system_sgpr_workgroup_id_y 0
		.amdhsa_system_sgpr_workgroup_id_z 0
		.amdhsa_system_sgpr_workgroup_info 0
		.amdhsa_system_vgpr_workitem_id 1
		.amdhsa_next_free_vgpr 2
		.amdhsa_next_free_sgpr 6
		.amdhsa_reserve_vcc 0
		.amdhsa_reserve_flat_scratch 0
		.amdhsa_float_round_mode_32 0
		.amdhsa_float_round_mode_16_64 0
		.amdhsa_float_denorm_mode_32 3
		.amdhsa_float_denorm_mode_16_64 3
		.amdhsa_dx10_clamp 1
		.amdhsa_ieee_mode 1
		.amdhsa_fp16_overflow 0
		.amdhsa_exception_fp_ieee_invalid_op 0
		.amdhsa_exception_fp_denorm_src 0
		.amdhsa_exception_fp_ieee_div_zero 0
		.amdhsa_exception_fp_ieee_overflow 0
		.amdhsa_exception_fp_ieee_underflow 0
		.amdhsa_exception_fp_ieee_inexact 0
		.amdhsa_exception_int_div_zero 0
	.end_amdhsa_kernel
	.section	.text._Z14flat_id_kernelILj256ELj2ELj1EEvPj,"axG",@progbits,_Z14flat_id_kernelILj256ELj2ELj1EEvPj,comdat
.Lfunc_end7:
	.size	_Z14flat_id_kernelILj256ELj2ELj1EEvPj, .Lfunc_end7-_Z14flat_id_kernelILj256ELj2ELj1EEvPj
                                        ; -- End function
	.set _Z14flat_id_kernelILj256ELj2ELj1EEvPj.num_vgpr, 2
	.set _Z14flat_id_kernelILj256ELj2ELj1EEvPj.num_agpr, 0
	.set _Z14flat_id_kernelILj256ELj2ELj1EEvPj.numbered_sgpr, 6
	.set _Z14flat_id_kernelILj256ELj2ELj1EEvPj.num_named_barrier, 0
	.set _Z14flat_id_kernelILj256ELj2ELj1EEvPj.private_seg_size, 0
	.set _Z14flat_id_kernelILj256ELj2ELj1EEvPj.uses_vcc, 0
	.set _Z14flat_id_kernelILj256ELj2ELj1EEvPj.uses_flat_scratch, 0
	.set _Z14flat_id_kernelILj256ELj2ELj1EEvPj.has_dyn_sized_stack, 0
	.set _Z14flat_id_kernelILj256ELj2ELj1EEvPj.has_recursion, 0
	.set _Z14flat_id_kernelILj256ELj2ELj1EEvPj.has_indirect_call, 0
	.section	.AMDGPU.csdata,"",@progbits
; Kernel info:
; codeLenInByte = 52
; TotalNumSgprs: 10
; NumVgprs: 2
; ScratchSize: 0
; MemoryBound: 0
; FloatMode: 240
; IeeeMode: 1
; LDSByteSize: 0 bytes/workgroup (compile time only)
; SGPRBlocks: 1
; VGPRBlocks: 0
; NumSGPRsForWavesPerEU: 10
; NumVGPRsForWavesPerEU: 2
; Occupancy: 10
; WaveLimiterHint : 0
; COMPUTE_PGM_RSRC2:SCRATCH_EN: 0
; COMPUTE_PGM_RSRC2:USER_SGPR: 6
; COMPUTE_PGM_RSRC2:TRAP_HANDLER: 0
; COMPUTE_PGM_RSRC2:TGID_X_EN: 1
; COMPUTE_PGM_RSRC2:TGID_Y_EN: 0
; COMPUTE_PGM_RSRC2:TGID_Z_EN: 0
; COMPUTE_PGM_RSRC2:TIDIG_COMP_CNT: 1
	.section	.text._Z14flat_id_kernelILj128ELj2ELj1EEvPj,"axG",@progbits,_Z14flat_id_kernelILj128ELj2ELj1EEvPj,comdat
	.protected	_Z14flat_id_kernelILj128ELj2ELj1EEvPj ; -- Begin function _Z14flat_id_kernelILj128ELj2ELj1EEvPj
	.globl	_Z14flat_id_kernelILj128ELj2ELj1EEvPj
	.p2align	8
	.type	_Z14flat_id_kernelILj128ELj2ELj1EEvPj,@function
_Z14flat_id_kernelILj128ELj2ELj1EEvPj:  ; @_Z14flat_id_kernelILj128ELj2ELj1EEvPj
; %bb.0:
	s_load_dword s2, s[4:5], 0x14
	s_load_dwordx2 s[0:1], s[4:5], 0x0
	s_waitcnt lgkmcnt(0)
	s_and_b32 s2, s2, 0xffff
	v_mad_u32_u24 v0, v1, s2, v0
	v_lshlrev_b32_e32 v1, 2, v0
	global_store_dword v1, v0, s[0:1]
	s_endpgm
	.section	.rodata,"a",@progbits
	.p2align	6, 0x0
	.amdhsa_kernel _Z14flat_id_kernelILj128ELj2ELj1EEvPj
		.amdhsa_group_segment_fixed_size 0
		.amdhsa_private_segment_fixed_size 0
		.amdhsa_kernarg_size 264
		.amdhsa_user_sgpr_count 6
		.amdhsa_user_sgpr_private_segment_buffer 1
		.amdhsa_user_sgpr_dispatch_ptr 0
		.amdhsa_user_sgpr_queue_ptr 0
		.amdhsa_user_sgpr_kernarg_segment_ptr 1
		.amdhsa_user_sgpr_dispatch_id 0
		.amdhsa_user_sgpr_flat_scratch_init 0
		.amdhsa_user_sgpr_private_segment_size 0
		.amdhsa_uses_dynamic_stack 0
		.amdhsa_system_sgpr_private_segment_wavefront_offset 0
		.amdhsa_system_sgpr_workgroup_id_x 1
		.amdhsa_system_sgpr_workgroup_id_y 0
		.amdhsa_system_sgpr_workgroup_id_z 0
		.amdhsa_system_sgpr_workgroup_info 0
		.amdhsa_system_vgpr_workitem_id 1
		.amdhsa_next_free_vgpr 2
		.amdhsa_next_free_sgpr 6
		.amdhsa_reserve_vcc 0
		.amdhsa_reserve_flat_scratch 0
		.amdhsa_float_round_mode_32 0
		.amdhsa_float_round_mode_16_64 0
		.amdhsa_float_denorm_mode_32 3
		.amdhsa_float_denorm_mode_16_64 3
		.amdhsa_dx10_clamp 1
		.amdhsa_ieee_mode 1
		.amdhsa_fp16_overflow 0
		.amdhsa_exception_fp_ieee_invalid_op 0
		.amdhsa_exception_fp_denorm_src 0
		.amdhsa_exception_fp_ieee_div_zero 0
		.amdhsa_exception_fp_ieee_overflow 0
		.amdhsa_exception_fp_ieee_underflow 0
		.amdhsa_exception_fp_ieee_inexact 0
		.amdhsa_exception_int_div_zero 0
	.end_amdhsa_kernel
	.section	.text._Z14flat_id_kernelILj128ELj2ELj1EEvPj,"axG",@progbits,_Z14flat_id_kernelILj128ELj2ELj1EEvPj,comdat
.Lfunc_end8:
	.size	_Z14flat_id_kernelILj128ELj2ELj1EEvPj, .Lfunc_end8-_Z14flat_id_kernelILj128ELj2ELj1EEvPj
                                        ; -- End function
	.set _Z14flat_id_kernelILj128ELj2ELj1EEvPj.num_vgpr, 2
	.set _Z14flat_id_kernelILj128ELj2ELj1EEvPj.num_agpr, 0
	.set _Z14flat_id_kernelILj128ELj2ELj1EEvPj.numbered_sgpr, 6
	.set _Z14flat_id_kernelILj128ELj2ELj1EEvPj.num_named_barrier, 0
	.set _Z14flat_id_kernelILj128ELj2ELj1EEvPj.private_seg_size, 0
	.set _Z14flat_id_kernelILj128ELj2ELj1EEvPj.uses_vcc, 0
	.set _Z14flat_id_kernelILj128ELj2ELj1EEvPj.uses_flat_scratch, 0
	.set _Z14flat_id_kernelILj128ELj2ELj1EEvPj.has_dyn_sized_stack, 0
	.set _Z14flat_id_kernelILj128ELj2ELj1EEvPj.has_recursion, 0
	.set _Z14flat_id_kernelILj128ELj2ELj1EEvPj.has_indirect_call, 0
	.section	.AMDGPU.csdata,"",@progbits
; Kernel info:
; codeLenInByte = 52
; TotalNumSgprs: 10
; NumVgprs: 2
; ScratchSize: 0
; MemoryBound: 0
; FloatMode: 240
; IeeeMode: 1
; LDSByteSize: 0 bytes/workgroup (compile time only)
; SGPRBlocks: 1
; VGPRBlocks: 0
; NumSGPRsForWavesPerEU: 10
; NumVGPRsForWavesPerEU: 2
; Occupancy: 10
; WaveLimiterHint : 0
; COMPUTE_PGM_RSRC2:SCRATCH_EN: 0
; COMPUTE_PGM_RSRC2:USER_SGPR: 6
; COMPUTE_PGM_RSRC2:TRAP_HANDLER: 0
; COMPUTE_PGM_RSRC2:TGID_X_EN: 1
; COMPUTE_PGM_RSRC2:TGID_Y_EN: 0
; COMPUTE_PGM_RSRC2:TGID_Z_EN: 0
; COMPUTE_PGM_RSRC2:TIDIG_COMP_CNT: 1
	.section	.text._Z14flat_id_kernelILj64ELj2ELj1EEvPj,"axG",@progbits,_Z14flat_id_kernelILj64ELj2ELj1EEvPj,comdat
	.protected	_Z14flat_id_kernelILj64ELj2ELj1EEvPj ; -- Begin function _Z14flat_id_kernelILj64ELj2ELj1EEvPj
	.globl	_Z14flat_id_kernelILj64ELj2ELj1EEvPj
	.p2align	8
	.type	_Z14flat_id_kernelILj64ELj2ELj1EEvPj,@function
_Z14flat_id_kernelILj64ELj2ELj1EEvPj:   ; @_Z14flat_id_kernelILj64ELj2ELj1EEvPj
; %bb.0:
	s_load_dword s2, s[4:5], 0x14
	s_load_dwordx2 s[0:1], s[4:5], 0x0
	s_waitcnt lgkmcnt(0)
	s_and_b32 s2, s2, 0xffff
	v_mad_u32_u24 v0, v1, s2, v0
	v_lshlrev_b32_e32 v1, 2, v0
	global_store_dword v1, v0, s[0:1]
	s_endpgm
	.section	.rodata,"a",@progbits
	.p2align	6, 0x0
	.amdhsa_kernel _Z14flat_id_kernelILj64ELj2ELj1EEvPj
		.amdhsa_group_segment_fixed_size 0
		.amdhsa_private_segment_fixed_size 0
		.amdhsa_kernarg_size 264
		.amdhsa_user_sgpr_count 6
		.amdhsa_user_sgpr_private_segment_buffer 1
		.amdhsa_user_sgpr_dispatch_ptr 0
		.amdhsa_user_sgpr_queue_ptr 0
		.amdhsa_user_sgpr_kernarg_segment_ptr 1
		.amdhsa_user_sgpr_dispatch_id 0
		.amdhsa_user_sgpr_flat_scratch_init 0
		.amdhsa_user_sgpr_private_segment_size 0
		.amdhsa_uses_dynamic_stack 0
		.amdhsa_system_sgpr_private_segment_wavefront_offset 0
		.amdhsa_system_sgpr_workgroup_id_x 1
		.amdhsa_system_sgpr_workgroup_id_y 0
		.amdhsa_system_sgpr_workgroup_id_z 0
		.amdhsa_system_sgpr_workgroup_info 0
		.amdhsa_system_vgpr_workitem_id 1
		.amdhsa_next_free_vgpr 2
		.amdhsa_next_free_sgpr 6
		.amdhsa_reserve_vcc 0
		.amdhsa_reserve_flat_scratch 0
		.amdhsa_float_round_mode_32 0
		.amdhsa_float_round_mode_16_64 0
		.amdhsa_float_denorm_mode_32 3
		.amdhsa_float_denorm_mode_16_64 3
		.amdhsa_dx10_clamp 1
		.amdhsa_ieee_mode 1
		.amdhsa_fp16_overflow 0
		.amdhsa_exception_fp_ieee_invalid_op 0
		.amdhsa_exception_fp_denorm_src 0
		.amdhsa_exception_fp_ieee_div_zero 0
		.amdhsa_exception_fp_ieee_overflow 0
		.amdhsa_exception_fp_ieee_underflow 0
		.amdhsa_exception_fp_ieee_inexact 0
		.amdhsa_exception_int_div_zero 0
	.end_amdhsa_kernel
	.section	.text._Z14flat_id_kernelILj64ELj2ELj1EEvPj,"axG",@progbits,_Z14flat_id_kernelILj64ELj2ELj1EEvPj,comdat
.Lfunc_end9:
	.size	_Z14flat_id_kernelILj64ELj2ELj1EEvPj, .Lfunc_end9-_Z14flat_id_kernelILj64ELj2ELj1EEvPj
                                        ; -- End function
	.set _Z14flat_id_kernelILj64ELj2ELj1EEvPj.num_vgpr, 2
	.set _Z14flat_id_kernelILj64ELj2ELj1EEvPj.num_agpr, 0
	.set _Z14flat_id_kernelILj64ELj2ELj1EEvPj.numbered_sgpr, 6
	.set _Z14flat_id_kernelILj64ELj2ELj1EEvPj.num_named_barrier, 0
	.set _Z14flat_id_kernelILj64ELj2ELj1EEvPj.private_seg_size, 0
	.set _Z14flat_id_kernelILj64ELj2ELj1EEvPj.uses_vcc, 0
	.set _Z14flat_id_kernelILj64ELj2ELj1EEvPj.uses_flat_scratch, 0
	.set _Z14flat_id_kernelILj64ELj2ELj1EEvPj.has_dyn_sized_stack, 0
	.set _Z14flat_id_kernelILj64ELj2ELj1EEvPj.has_recursion, 0
	.set _Z14flat_id_kernelILj64ELj2ELj1EEvPj.has_indirect_call, 0
	.section	.AMDGPU.csdata,"",@progbits
; Kernel info:
; codeLenInByte = 52
; TotalNumSgprs: 10
; NumVgprs: 2
; ScratchSize: 0
; MemoryBound: 0
; FloatMode: 240
; IeeeMode: 1
; LDSByteSize: 0 bytes/workgroup (compile time only)
; SGPRBlocks: 1
; VGPRBlocks: 0
; NumSGPRsForWavesPerEU: 10
; NumVGPRsForWavesPerEU: 2
; Occupancy: 10
; WaveLimiterHint : 0
; COMPUTE_PGM_RSRC2:SCRATCH_EN: 0
; COMPUTE_PGM_RSRC2:USER_SGPR: 6
; COMPUTE_PGM_RSRC2:TRAP_HANDLER: 0
; COMPUTE_PGM_RSRC2:TGID_X_EN: 1
; COMPUTE_PGM_RSRC2:TGID_Y_EN: 0
; COMPUTE_PGM_RSRC2:TGID_Z_EN: 0
; COMPUTE_PGM_RSRC2:TIDIG_COMP_CNT: 1
	.section	.text._Z14flat_id_kernelILj32ELj2ELj1EEvPj,"axG",@progbits,_Z14flat_id_kernelILj32ELj2ELj1EEvPj,comdat
	.protected	_Z14flat_id_kernelILj32ELj2ELj1EEvPj ; -- Begin function _Z14flat_id_kernelILj32ELj2ELj1EEvPj
	.globl	_Z14flat_id_kernelILj32ELj2ELj1EEvPj
	.p2align	8
	.type	_Z14flat_id_kernelILj32ELj2ELj1EEvPj,@function
_Z14flat_id_kernelILj32ELj2ELj1EEvPj:   ; @_Z14flat_id_kernelILj32ELj2ELj1EEvPj
; %bb.0:
	s_load_dword s2, s[4:5], 0x14
	s_load_dwordx2 s[0:1], s[4:5], 0x0
	s_waitcnt lgkmcnt(0)
	s_and_b32 s2, s2, 0xffff
	v_mad_u32_u24 v0, v1, s2, v0
	v_lshlrev_b32_e32 v1, 2, v0
	global_store_dword v1, v0, s[0:1]
	s_endpgm
	.section	.rodata,"a",@progbits
	.p2align	6, 0x0
	.amdhsa_kernel _Z14flat_id_kernelILj32ELj2ELj1EEvPj
		.amdhsa_group_segment_fixed_size 0
		.amdhsa_private_segment_fixed_size 0
		.amdhsa_kernarg_size 264
		.amdhsa_user_sgpr_count 6
		.amdhsa_user_sgpr_private_segment_buffer 1
		.amdhsa_user_sgpr_dispatch_ptr 0
		.amdhsa_user_sgpr_queue_ptr 0
		.amdhsa_user_sgpr_kernarg_segment_ptr 1
		.amdhsa_user_sgpr_dispatch_id 0
		.amdhsa_user_sgpr_flat_scratch_init 0
		.amdhsa_user_sgpr_private_segment_size 0
		.amdhsa_uses_dynamic_stack 0
		.amdhsa_system_sgpr_private_segment_wavefront_offset 0
		.amdhsa_system_sgpr_workgroup_id_x 1
		.amdhsa_system_sgpr_workgroup_id_y 0
		.amdhsa_system_sgpr_workgroup_id_z 0
		.amdhsa_system_sgpr_workgroup_info 0
		.amdhsa_system_vgpr_workitem_id 1
		.amdhsa_next_free_vgpr 2
		.amdhsa_next_free_sgpr 6
		.amdhsa_reserve_vcc 0
		.amdhsa_reserve_flat_scratch 0
		.amdhsa_float_round_mode_32 0
		.amdhsa_float_round_mode_16_64 0
		.amdhsa_float_denorm_mode_32 3
		.amdhsa_float_denorm_mode_16_64 3
		.amdhsa_dx10_clamp 1
		.amdhsa_ieee_mode 1
		.amdhsa_fp16_overflow 0
		.amdhsa_exception_fp_ieee_invalid_op 0
		.amdhsa_exception_fp_denorm_src 0
		.amdhsa_exception_fp_ieee_div_zero 0
		.amdhsa_exception_fp_ieee_overflow 0
		.amdhsa_exception_fp_ieee_underflow 0
		.amdhsa_exception_fp_ieee_inexact 0
		.amdhsa_exception_int_div_zero 0
	.end_amdhsa_kernel
	.section	.text._Z14flat_id_kernelILj32ELj2ELj1EEvPj,"axG",@progbits,_Z14flat_id_kernelILj32ELj2ELj1EEvPj,comdat
.Lfunc_end10:
	.size	_Z14flat_id_kernelILj32ELj2ELj1EEvPj, .Lfunc_end10-_Z14flat_id_kernelILj32ELj2ELj1EEvPj
                                        ; -- End function
	.set _Z14flat_id_kernelILj32ELj2ELj1EEvPj.num_vgpr, 2
	.set _Z14flat_id_kernelILj32ELj2ELj1EEvPj.num_agpr, 0
	.set _Z14flat_id_kernelILj32ELj2ELj1EEvPj.numbered_sgpr, 6
	.set _Z14flat_id_kernelILj32ELj2ELj1EEvPj.num_named_barrier, 0
	.set _Z14flat_id_kernelILj32ELj2ELj1EEvPj.private_seg_size, 0
	.set _Z14flat_id_kernelILj32ELj2ELj1EEvPj.uses_vcc, 0
	.set _Z14flat_id_kernelILj32ELj2ELj1EEvPj.uses_flat_scratch, 0
	.set _Z14flat_id_kernelILj32ELj2ELj1EEvPj.has_dyn_sized_stack, 0
	.set _Z14flat_id_kernelILj32ELj2ELj1EEvPj.has_recursion, 0
	.set _Z14flat_id_kernelILj32ELj2ELj1EEvPj.has_indirect_call, 0
	.section	.AMDGPU.csdata,"",@progbits
; Kernel info:
; codeLenInByte = 52
; TotalNumSgprs: 10
; NumVgprs: 2
; ScratchSize: 0
; MemoryBound: 0
; FloatMode: 240
; IeeeMode: 1
; LDSByteSize: 0 bytes/workgroup (compile time only)
; SGPRBlocks: 1
; VGPRBlocks: 0
; NumSGPRsForWavesPerEU: 10
; NumVGPRsForWavesPerEU: 2
; Occupancy: 10
; WaveLimiterHint : 0
; COMPUTE_PGM_RSRC2:SCRATCH_EN: 0
; COMPUTE_PGM_RSRC2:USER_SGPR: 6
; COMPUTE_PGM_RSRC2:TRAP_HANDLER: 0
; COMPUTE_PGM_RSRC2:TGID_X_EN: 1
; COMPUTE_PGM_RSRC2:TGID_Y_EN: 0
; COMPUTE_PGM_RSRC2:TGID_Z_EN: 0
; COMPUTE_PGM_RSRC2:TIDIG_COMP_CNT: 1
	.section	.text._Z14flat_id_kernelILj16ELj2ELj1EEvPj,"axG",@progbits,_Z14flat_id_kernelILj16ELj2ELj1EEvPj,comdat
	.protected	_Z14flat_id_kernelILj16ELj2ELj1EEvPj ; -- Begin function _Z14flat_id_kernelILj16ELj2ELj1EEvPj
	.globl	_Z14flat_id_kernelILj16ELj2ELj1EEvPj
	.p2align	8
	.type	_Z14flat_id_kernelILj16ELj2ELj1EEvPj,@function
_Z14flat_id_kernelILj16ELj2ELj1EEvPj:   ; @_Z14flat_id_kernelILj16ELj2ELj1EEvPj
; %bb.0:
	s_load_dword s2, s[4:5], 0x14
	s_load_dwordx2 s[0:1], s[4:5], 0x0
	s_waitcnt lgkmcnt(0)
	s_and_b32 s2, s2, 0xffff
	v_mad_u32_u24 v0, v1, s2, v0
	v_lshlrev_b32_e32 v1, 2, v0
	global_store_dword v1, v0, s[0:1]
	s_endpgm
	.section	.rodata,"a",@progbits
	.p2align	6, 0x0
	.amdhsa_kernel _Z14flat_id_kernelILj16ELj2ELj1EEvPj
		.amdhsa_group_segment_fixed_size 0
		.amdhsa_private_segment_fixed_size 0
		.amdhsa_kernarg_size 264
		.amdhsa_user_sgpr_count 6
		.amdhsa_user_sgpr_private_segment_buffer 1
		.amdhsa_user_sgpr_dispatch_ptr 0
		.amdhsa_user_sgpr_queue_ptr 0
		.amdhsa_user_sgpr_kernarg_segment_ptr 1
		.amdhsa_user_sgpr_dispatch_id 0
		.amdhsa_user_sgpr_flat_scratch_init 0
		.amdhsa_user_sgpr_private_segment_size 0
		.amdhsa_uses_dynamic_stack 0
		.amdhsa_system_sgpr_private_segment_wavefront_offset 0
		.amdhsa_system_sgpr_workgroup_id_x 1
		.amdhsa_system_sgpr_workgroup_id_y 0
		.amdhsa_system_sgpr_workgroup_id_z 0
		.amdhsa_system_sgpr_workgroup_info 0
		.amdhsa_system_vgpr_workitem_id 1
		.amdhsa_next_free_vgpr 2
		.amdhsa_next_free_sgpr 6
		.amdhsa_reserve_vcc 0
		.amdhsa_reserve_flat_scratch 0
		.amdhsa_float_round_mode_32 0
		.amdhsa_float_round_mode_16_64 0
		.amdhsa_float_denorm_mode_32 3
		.amdhsa_float_denorm_mode_16_64 3
		.amdhsa_dx10_clamp 1
		.amdhsa_ieee_mode 1
		.amdhsa_fp16_overflow 0
		.amdhsa_exception_fp_ieee_invalid_op 0
		.amdhsa_exception_fp_denorm_src 0
		.amdhsa_exception_fp_ieee_div_zero 0
		.amdhsa_exception_fp_ieee_overflow 0
		.amdhsa_exception_fp_ieee_underflow 0
		.amdhsa_exception_fp_ieee_inexact 0
		.amdhsa_exception_int_div_zero 0
	.end_amdhsa_kernel
	.section	.text._Z14flat_id_kernelILj16ELj2ELj1EEvPj,"axG",@progbits,_Z14flat_id_kernelILj16ELj2ELj1EEvPj,comdat
.Lfunc_end11:
	.size	_Z14flat_id_kernelILj16ELj2ELj1EEvPj, .Lfunc_end11-_Z14flat_id_kernelILj16ELj2ELj1EEvPj
                                        ; -- End function
	.set _Z14flat_id_kernelILj16ELj2ELj1EEvPj.num_vgpr, 2
	.set _Z14flat_id_kernelILj16ELj2ELj1EEvPj.num_agpr, 0
	.set _Z14flat_id_kernelILj16ELj2ELj1EEvPj.numbered_sgpr, 6
	.set _Z14flat_id_kernelILj16ELj2ELj1EEvPj.num_named_barrier, 0
	.set _Z14flat_id_kernelILj16ELj2ELj1EEvPj.private_seg_size, 0
	.set _Z14flat_id_kernelILj16ELj2ELj1EEvPj.uses_vcc, 0
	.set _Z14flat_id_kernelILj16ELj2ELj1EEvPj.uses_flat_scratch, 0
	.set _Z14flat_id_kernelILj16ELj2ELj1EEvPj.has_dyn_sized_stack, 0
	.set _Z14flat_id_kernelILj16ELj2ELj1EEvPj.has_recursion, 0
	.set _Z14flat_id_kernelILj16ELj2ELj1EEvPj.has_indirect_call, 0
	.section	.AMDGPU.csdata,"",@progbits
; Kernel info:
; codeLenInByte = 52
; TotalNumSgprs: 10
; NumVgprs: 2
; ScratchSize: 0
; MemoryBound: 0
; FloatMode: 240
; IeeeMode: 1
; LDSByteSize: 0 bytes/workgroup (compile time only)
; SGPRBlocks: 1
; VGPRBlocks: 0
; NumSGPRsForWavesPerEU: 10
; NumVGPRsForWavesPerEU: 2
; Occupancy: 10
; WaveLimiterHint : 0
; COMPUTE_PGM_RSRC2:SCRATCH_EN: 0
; COMPUTE_PGM_RSRC2:USER_SGPR: 6
; COMPUTE_PGM_RSRC2:TRAP_HANDLER: 0
; COMPUTE_PGM_RSRC2:TGID_X_EN: 1
; COMPUTE_PGM_RSRC2:TGID_Y_EN: 0
; COMPUTE_PGM_RSRC2:TGID_Z_EN: 0
; COMPUTE_PGM_RSRC2:TIDIG_COMP_CNT: 1
	.section	.text._Z14flat_id_kernelILj1024ELj1ELj1EEvPj,"axG",@progbits,_Z14flat_id_kernelILj1024ELj1ELj1EEvPj,comdat
	.protected	_Z14flat_id_kernelILj1024ELj1ELj1EEvPj ; -- Begin function _Z14flat_id_kernelILj1024ELj1ELj1EEvPj
	.globl	_Z14flat_id_kernelILj1024ELj1ELj1EEvPj
	.p2align	8
	.type	_Z14flat_id_kernelILj1024ELj1ELj1EEvPj,@function
_Z14flat_id_kernelILj1024ELj1ELj1EEvPj: ; @_Z14flat_id_kernelILj1024ELj1ELj1EEvPj
; %bb.0:
	s_load_dwordx2 s[0:1], s[4:5], 0x0
	v_lshlrev_b32_e32 v1, 2, v0
	s_waitcnt lgkmcnt(0)
	global_store_dword v1, v0, s[0:1]
	s_endpgm
	.section	.rodata,"a",@progbits
	.p2align	6, 0x0
	.amdhsa_kernel _Z14flat_id_kernelILj1024ELj1ELj1EEvPj
		.amdhsa_group_segment_fixed_size 0
		.amdhsa_private_segment_fixed_size 0
		.amdhsa_kernarg_size 8
		.amdhsa_user_sgpr_count 6
		.amdhsa_user_sgpr_private_segment_buffer 1
		.amdhsa_user_sgpr_dispatch_ptr 0
		.amdhsa_user_sgpr_queue_ptr 0
		.amdhsa_user_sgpr_kernarg_segment_ptr 1
		.amdhsa_user_sgpr_dispatch_id 0
		.amdhsa_user_sgpr_flat_scratch_init 0
		.amdhsa_user_sgpr_private_segment_size 0
		.amdhsa_uses_dynamic_stack 0
		.amdhsa_system_sgpr_private_segment_wavefront_offset 0
		.amdhsa_system_sgpr_workgroup_id_x 1
		.amdhsa_system_sgpr_workgroup_id_y 0
		.amdhsa_system_sgpr_workgroup_id_z 0
		.amdhsa_system_sgpr_workgroup_info 0
		.amdhsa_system_vgpr_workitem_id 0
		.amdhsa_next_free_vgpr 2
		.amdhsa_next_free_sgpr 6
		.amdhsa_reserve_vcc 0
		.amdhsa_reserve_flat_scratch 0
		.amdhsa_float_round_mode_32 0
		.amdhsa_float_round_mode_16_64 0
		.amdhsa_float_denorm_mode_32 3
		.amdhsa_float_denorm_mode_16_64 3
		.amdhsa_dx10_clamp 1
		.amdhsa_ieee_mode 1
		.amdhsa_fp16_overflow 0
		.amdhsa_exception_fp_ieee_invalid_op 0
		.amdhsa_exception_fp_denorm_src 0
		.amdhsa_exception_fp_ieee_div_zero 0
		.amdhsa_exception_fp_ieee_overflow 0
		.amdhsa_exception_fp_ieee_underflow 0
		.amdhsa_exception_fp_ieee_inexact 0
		.amdhsa_exception_int_div_zero 0
	.end_amdhsa_kernel
	.section	.text._Z14flat_id_kernelILj1024ELj1ELj1EEvPj,"axG",@progbits,_Z14flat_id_kernelILj1024ELj1ELj1EEvPj,comdat
.Lfunc_end12:
	.size	_Z14flat_id_kernelILj1024ELj1ELj1EEvPj, .Lfunc_end12-_Z14flat_id_kernelILj1024ELj1ELj1EEvPj
                                        ; -- End function
	.set _Z14flat_id_kernelILj1024ELj1ELj1EEvPj.num_vgpr, 2
	.set _Z14flat_id_kernelILj1024ELj1ELj1EEvPj.num_agpr, 0
	.set _Z14flat_id_kernelILj1024ELj1ELj1EEvPj.numbered_sgpr, 6
	.set _Z14flat_id_kernelILj1024ELj1ELj1EEvPj.num_named_barrier, 0
	.set _Z14flat_id_kernelILj1024ELj1ELj1EEvPj.private_seg_size, 0
	.set _Z14flat_id_kernelILj1024ELj1ELj1EEvPj.uses_vcc, 0
	.set _Z14flat_id_kernelILj1024ELj1ELj1EEvPj.uses_flat_scratch, 0
	.set _Z14flat_id_kernelILj1024ELj1ELj1EEvPj.has_dyn_sized_stack, 0
	.set _Z14flat_id_kernelILj1024ELj1ELj1EEvPj.has_recursion, 0
	.set _Z14flat_id_kernelILj1024ELj1ELj1EEvPj.has_indirect_call, 0
	.section	.AMDGPU.csdata,"",@progbits
; Kernel info:
; codeLenInByte = 28
; TotalNumSgprs: 10
; NumVgprs: 2
; ScratchSize: 0
; MemoryBound: 0
; FloatMode: 240
; IeeeMode: 1
; LDSByteSize: 0 bytes/workgroup (compile time only)
; SGPRBlocks: 1
; VGPRBlocks: 0
; NumSGPRsForWavesPerEU: 10
; NumVGPRsForWavesPerEU: 2
; Occupancy: 10
; WaveLimiterHint : 0
; COMPUTE_PGM_RSRC2:SCRATCH_EN: 0
; COMPUTE_PGM_RSRC2:USER_SGPR: 6
; COMPUTE_PGM_RSRC2:TRAP_HANDLER: 0
; COMPUTE_PGM_RSRC2:TGID_X_EN: 1
; COMPUTE_PGM_RSRC2:TGID_Y_EN: 0
; COMPUTE_PGM_RSRC2:TGID_Z_EN: 0
; COMPUTE_PGM_RSRC2:TIDIG_COMP_CNT: 0
	.section	.text._Z14flat_id_kernelILj512ELj1ELj1EEvPj,"axG",@progbits,_Z14flat_id_kernelILj512ELj1ELj1EEvPj,comdat
	.protected	_Z14flat_id_kernelILj512ELj1ELj1EEvPj ; -- Begin function _Z14flat_id_kernelILj512ELj1ELj1EEvPj
	.globl	_Z14flat_id_kernelILj512ELj1ELj1EEvPj
	.p2align	8
	.type	_Z14flat_id_kernelILj512ELj1ELj1EEvPj,@function
_Z14flat_id_kernelILj512ELj1ELj1EEvPj:  ; @_Z14flat_id_kernelILj512ELj1ELj1EEvPj
; %bb.0:
	s_load_dwordx2 s[0:1], s[4:5], 0x0
	v_lshlrev_b32_e32 v1, 2, v0
	s_waitcnt lgkmcnt(0)
	global_store_dword v1, v0, s[0:1]
	s_endpgm
	.section	.rodata,"a",@progbits
	.p2align	6, 0x0
	.amdhsa_kernel _Z14flat_id_kernelILj512ELj1ELj1EEvPj
		.amdhsa_group_segment_fixed_size 0
		.amdhsa_private_segment_fixed_size 0
		.amdhsa_kernarg_size 8
		.amdhsa_user_sgpr_count 6
		.amdhsa_user_sgpr_private_segment_buffer 1
		.amdhsa_user_sgpr_dispatch_ptr 0
		.amdhsa_user_sgpr_queue_ptr 0
		.amdhsa_user_sgpr_kernarg_segment_ptr 1
		.amdhsa_user_sgpr_dispatch_id 0
		.amdhsa_user_sgpr_flat_scratch_init 0
		.amdhsa_user_sgpr_private_segment_size 0
		.amdhsa_uses_dynamic_stack 0
		.amdhsa_system_sgpr_private_segment_wavefront_offset 0
		.amdhsa_system_sgpr_workgroup_id_x 1
		.amdhsa_system_sgpr_workgroup_id_y 0
		.amdhsa_system_sgpr_workgroup_id_z 0
		.amdhsa_system_sgpr_workgroup_info 0
		.amdhsa_system_vgpr_workitem_id 0
		.amdhsa_next_free_vgpr 2
		.amdhsa_next_free_sgpr 6
		.amdhsa_reserve_vcc 0
		.amdhsa_reserve_flat_scratch 0
		.amdhsa_float_round_mode_32 0
		.amdhsa_float_round_mode_16_64 0
		.amdhsa_float_denorm_mode_32 3
		.amdhsa_float_denorm_mode_16_64 3
		.amdhsa_dx10_clamp 1
		.amdhsa_ieee_mode 1
		.amdhsa_fp16_overflow 0
		.amdhsa_exception_fp_ieee_invalid_op 0
		.amdhsa_exception_fp_denorm_src 0
		.amdhsa_exception_fp_ieee_div_zero 0
		.amdhsa_exception_fp_ieee_overflow 0
		.amdhsa_exception_fp_ieee_underflow 0
		.amdhsa_exception_fp_ieee_inexact 0
		.amdhsa_exception_int_div_zero 0
	.end_amdhsa_kernel
	.section	.text._Z14flat_id_kernelILj512ELj1ELj1EEvPj,"axG",@progbits,_Z14flat_id_kernelILj512ELj1ELj1EEvPj,comdat
.Lfunc_end13:
	.size	_Z14flat_id_kernelILj512ELj1ELj1EEvPj, .Lfunc_end13-_Z14flat_id_kernelILj512ELj1ELj1EEvPj
                                        ; -- End function
	.set _Z14flat_id_kernelILj512ELj1ELj1EEvPj.num_vgpr, 2
	.set _Z14flat_id_kernelILj512ELj1ELj1EEvPj.num_agpr, 0
	.set _Z14flat_id_kernelILj512ELj1ELj1EEvPj.numbered_sgpr, 6
	.set _Z14flat_id_kernelILj512ELj1ELj1EEvPj.num_named_barrier, 0
	.set _Z14flat_id_kernelILj512ELj1ELj1EEvPj.private_seg_size, 0
	.set _Z14flat_id_kernelILj512ELj1ELj1EEvPj.uses_vcc, 0
	.set _Z14flat_id_kernelILj512ELj1ELj1EEvPj.uses_flat_scratch, 0
	.set _Z14flat_id_kernelILj512ELj1ELj1EEvPj.has_dyn_sized_stack, 0
	.set _Z14flat_id_kernelILj512ELj1ELj1EEvPj.has_recursion, 0
	.set _Z14flat_id_kernelILj512ELj1ELj1EEvPj.has_indirect_call, 0
	.section	.AMDGPU.csdata,"",@progbits
; Kernel info:
; codeLenInByte = 28
; TotalNumSgprs: 10
; NumVgprs: 2
; ScratchSize: 0
; MemoryBound: 0
; FloatMode: 240
; IeeeMode: 1
; LDSByteSize: 0 bytes/workgroup (compile time only)
; SGPRBlocks: 1
; VGPRBlocks: 0
; NumSGPRsForWavesPerEU: 10
; NumVGPRsForWavesPerEU: 2
; Occupancy: 10
; WaveLimiterHint : 0
; COMPUTE_PGM_RSRC2:SCRATCH_EN: 0
; COMPUTE_PGM_RSRC2:USER_SGPR: 6
; COMPUTE_PGM_RSRC2:TRAP_HANDLER: 0
; COMPUTE_PGM_RSRC2:TGID_X_EN: 1
; COMPUTE_PGM_RSRC2:TGID_Y_EN: 0
; COMPUTE_PGM_RSRC2:TGID_Z_EN: 0
; COMPUTE_PGM_RSRC2:TIDIG_COMP_CNT: 0
	.section	.text._Z14flat_id_kernelILj256ELj1ELj1EEvPj,"axG",@progbits,_Z14flat_id_kernelILj256ELj1ELj1EEvPj,comdat
	.protected	_Z14flat_id_kernelILj256ELj1ELj1EEvPj ; -- Begin function _Z14flat_id_kernelILj256ELj1ELj1EEvPj
	.globl	_Z14flat_id_kernelILj256ELj1ELj1EEvPj
	.p2align	8
	.type	_Z14flat_id_kernelILj256ELj1ELj1EEvPj,@function
_Z14flat_id_kernelILj256ELj1ELj1EEvPj:  ; @_Z14flat_id_kernelILj256ELj1ELj1EEvPj
; %bb.0:
	s_load_dwordx2 s[0:1], s[4:5], 0x0
	v_lshlrev_b32_e32 v1, 2, v0
	s_waitcnt lgkmcnt(0)
	global_store_dword v1, v0, s[0:1]
	s_endpgm
	.section	.rodata,"a",@progbits
	.p2align	6, 0x0
	.amdhsa_kernel _Z14flat_id_kernelILj256ELj1ELj1EEvPj
		.amdhsa_group_segment_fixed_size 0
		.amdhsa_private_segment_fixed_size 0
		.amdhsa_kernarg_size 8
		.amdhsa_user_sgpr_count 6
		.amdhsa_user_sgpr_private_segment_buffer 1
		.amdhsa_user_sgpr_dispatch_ptr 0
		.amdhsa_user_sgpr_queue_ptr 0
		.amdhsa_user_sgpr_kernarg_segment_ptr 1
		.amdhsa_user_sgpr_dispatch_id 0
		.amdhsa_user_sgpr_flat_scratch_init 0
		.amdhsa_user_sgpr_private_segment_size 0
		.amdhsa_uses_dynamic_stack 0
		.amdhsa_system_sgpr_private_segment_wavefront_offset 0
		.amdhsa_system_sgpr_workgroup_id_x 1
		.amdhsa_system_sgpr_workgroup_id_y 0
		.amdhsa_system_sgpr_workgroup_id_z 0
		.amdhsa_system_sgpr_workgroup_info 0
		.amdhsa_system_vgpr_workitem_id 0
		.amdhsa_next_free_vgpr 2
		.amdhsa_next_free_sgpr 6
		.amdhsa_reserve_vcc 0
		.amdhsa_reserve_flat_scratch 0
		.amdhsa_float_round_mode_32 0
		.amdhsa_float_round_mode_16_64 0
		.amdhsa_float_denorm_mode_32 3
		.amdhsa_float_denorm_mode_16_64 3
		.amdhsa_dx10_clamp 1
		.amdhsa_ieee_mode 1
		.amdhsa_fp16_overflow 0
		.amdhsa_exception_fp_ieee_invalid_op 0
		.amdhsa_exception_fp_denorm_src 0
		.amdhsa_exception_fp_ieee_div_zero 0
		.amdhsa_exception_fp_ieee_overflow 0
		.amdhsa_exception_fp_ieee_underflow 0
		.amdhsa_exception_fp_ieee_inexact 0
		.amdhsa_exception_int_div_zero 0
	.end_amdhsa_kernel
	.section	.text._Z14flat_id_kernelILj256ELj1ELj1EEvPj,"axG",@progbits,_Z14flat_id_kernelILj256ELj1ELj1EEvPj,comdat
.Lfunc_end14:
	.size	_Z14flat_id_kernelILj256ELj1ELj1EEvPj, .Lfunc_end14-_Z14flat_id_kernelILj256ELj1ELj1EEvPj
                                        ; -- End function
	.set _Z14flat_id_kernelILj256ELj1ELj1EEvPj.num_vgpr, 2
	.set _Z14flat_id_kernelILj256ELj1ELj1EEvPj.num_agpr, 0
	.set _Z14flat_id_kernelILj256ELj1ELj1EEvPj.numbered_sgpr, 6
	.set _Z14flat_id_kernelILj256ELj1ELj1EEvPj.num_named_barrier, 0
	.set _Z14flat_id_kernelILj256ELj1ELj1EEvPj.private_seg_size, 0
	.set _Z14flat_id_kernelILj256ELj1ELj1EEvPj.uses_vcc, 0
	.set _Z14flat_id_kernelILj256ELj1ELj1EEvPj.uses_flat_scratch, 0
	.set _Z14flat_id_kernelILj256ELj1ELj1EEvPj.has_dyn_sized_stack, 0
	.set _Z14flat_id_kernelILj256ELj1ELj1EEvPj.has_recursion, 0
	.set _Z14flat_id_kernelILj256ELj1ELj1EEvPj.has_indirect_call, 0
	.section	.AMDGPU.csdata,"",@progbits
; Kernel info:
; codeLenInByte = 28
; TotalNumSgprs: 10
; NumVgprs: 2
; ScratchSize: 0
; MemoryBound: 0
; FloatMode: 240
; IeeeMode: 1
; LDSByteSize: 0 bytes/workgroup (compile time only)
; SGPRBlocks: 1
; VGPRBlocks: 0
; NumSGPRsForWavesPerEU: 10
; NumVGPRsForWavesPerEU: 2
; Occupancy: 10
; WaveLimiterHint : 0
; COMPUTE_PGM_RSRC2:SCRATCH_EN: 0
; COMPUTE_PGM_RSRC2:USER_SGPR: 6
; COMPUTE_PGM_RSRC2:TRAP_HANDLER: 0
; COMPUTE_PGM_RSRC2:TGID_X_EN: 1
; COMPUTE_PGM_RSRC2:TGID_Y_EN: 0
; COMPUTE_PGM_RSRC2:TGID_Z_EN: 0
; COMPUTE_PGM_RSRC2:TIDIG_COMP_CNT: 0
	.section	.text._Z14flat_id_kernelILj128ELj1ELj1EEvPj,"axG",@progbits,_Z14flat_id_kernelILj128ELj1ELj1EEvPj,comdat
	.protected	_Z14flat_id_kernelILj128ELj1ELj1EEvPj ; -- Begin function _Z14flat_id_kernelILj128ELj1ELj1EEvPj
	.globl	_Z14flat_id_kernelILj128ELj1ELj1EEvPj
	.p2align	8
	.type	_Z14flat_id_kernelILj128ELj1ELj1EEvPj,@function
_Z14flat_id_kernelILj128ELj1ELj1EEvPj:  ; @_Z14flat_id_kernelILj128ELj1ELj1EEvPj
; %bb.0:
	s_load_dwordx2 s[0:1], s[4:5], 0x0
	v_lshlrev_b32_e32 v1, 2, v0
	s_waitcnt lgkmcnt(0)
	global_store_dword v1, v0, s[0:1]
	s_endpgm
	.section	.rodata,"a",@progbits
	.p2align	6, 0x0
	.amdhsa_kernel _Z14flat_id_kernelILj128ELj1ELj1EEvPj
		.amdhsa_group_segment_fixed_size 0
		.amdhsa_private_segment_fixed_size 0
		.amdhsa_kernarg_size 8
		.amdhsa_user_sgpr_count 6
		.amdhsa_user_sgpr_private_segment_buffer 1
		.amdhsa_user_sgpr_dispatch_ptr 0
		.amdhsa_user_sgpr_queue_ptr 0
		.amdhsa_user_sgpr_kernarg_segment_ptr 1
		.amdhsa_user_sgpr_dispatch_id 0
		.amdhsa_user_sgpr_flat_scratch_init 0
		.amdhsa_user_sgpr_private_segment_size 0
		.amdhsa_uses_dynamic_stack 0
		.amdhsa_system_sgpr_private_segment_wavefront_offset 0
		.amdhsa_system_sgpr_workgroup_id_x 1
		.amdhsa_system_sgpr_workgroup_id_y 0
		.amdhsa_system_sgpr_workgroup_id_z 0
		.amdhsa_system_sgpr_workgroup_info 0
		.amdhsa_system_vgpr_workitem_id 0
		.amdhsa_next_free_vgpr 2
		.amdhsa_next_free_sgpr 6
		.amdhsa_reserve_vcc 0
		.amdhsa_reserve_flat_scratch 0
		.amdhsa_float_round_mode_32 0
		.amdhsa_float_round_mode_16_64 0
		.amdhsa_float_denorm_mode_32 3
		.amdhsa_float_denorm_mode_16_64 3
		.amdhsa_dx10_clamp 1
		.amdhsa_ieee_mode 1
		.amdhsa_fp16_overflow 0
		.amdhsa_exception_fp_ieee_invalid_op 0
		.amdhsa_exception_fp_denorm_src 0
		.amdhsa_exception_fp_ieee_div_zero 0
		.amdhsa_exception_fp_ieee_overflow 0
		.amdhsa_exception_fp_ieee_underflow 0
		.amdhsa_exception_fp_ieee_inexact 0
		.amdhsa_exception_int_div_zero 0
	.end_amdhsa_kernel
	.section	.text._Z14flat_id_kernelILj128ELj1ELj1EEvPj,"axG",@progbits,_Z14flat_id_kernelILj128ELj1ELj1EEvPj,comdat
.Lfunc_end15:
	.size	_Z14flat_id_kernelILj128ELj1ELj1EEvPj, .Lfunc_end15-_Z14flat_id_kernelILj128ELj1ELj1EEvPj
                                        ; -- End function
	.set _Z14flat_id_kernelILj128ELj1ELj1EEvPj.num_vgpr, 2
	.set _Z14flat_id_kernelILj128ELj1ELj1EEvPj.num_agpr, 0
	.set _Z14flat_id_kernelILj128ELj1ELj1EEvPj.numbered_sgpr, 6
	.set _Z14flat_id_kernelILj128ELj1ELj1EEvPj.num_named_barrier, 0
	.set _Z14flat_id_kernelILj128ELj1ELj1EEvPj.private_seg_size, 0
	.set _Z14flat_id_kernelILj128ELj1ELj1EEvPj.uses_vcc, 0
	.set _Z14flat_id_kernelILj128ELj1ELj1EEvPj.uses_flat_scratch, 0
	.set _Z14flat_id_kernelILj128ELj1ELj1EEvPj.has_dyn_sized_stack, 0
	.set _Z14flat_id_kernelILj128ELj1ELj1EEvPj.has_recursion, 0
	.set _Z14flat_id_kernelILj128ELj1ELj1EEvPj.has_indirect_call, 0
	.section	.AMDGPU.csdata,"",@progbits
; Kernel info:
; codeLenInByte = 28
; TotalNumSgprs: 10
; NumVgprs: 2
; ScratchSize: 0
; MemoryBound: 0
; FloatMode: 240
; IeeeMode: 1
; LDSByteSize: 0 bytes/workgroup (compile time only)
; SGPRBlocks: 1
; VGPRBlocks: 0
; NumSGPRsForWavesPerEU: 10
; NumVGPRsForWavesPerEU: 2
; Occupancy: 10
; WaveLimiterHint : 0
; COMPUTE_PGM_RSRC2:SCRATCH_EN: 0
; COMPUTE_PGM_RSRC2:USER_SGPR: 6
; COMPUTE_PGM_RSRC2:TRAP_HANDLER: 0
; COMPUTE_PGM_RSRC2:TGID_X_EN: 1
; COMPUTE_PGM_RSRC2:TGID_Y_EN: 0
; COMPUTE_PGM_RSRC2:TGID_Z_EN: 0
; COMPUTE_PGM_RSRC2:TIDIG_COMP_CNT: 0
	.section	.text._Z14flat_id_kernelILj64ELj1ELj1EEvPj,"axG",@progbits,_Z14flat_id_kernelILj64ELj1ELj1EEvPj,comdat
	.protected	_Z14flat_id_kernelILj64ELj1ELj1EEvPj ; -- Begin function _Z14flat_id_kernelILj64ELj1ELj1EEvPj
	.globl	_Z14flat_id_kernelILj64ELj1ELj1EEvPj
	.p2align	8
	.type	_Z14flat_id_kernelILj64ELj1ELj1EEvPj,@function
_Z14flat_id_kernelILj64ELj1ELj1EEvPj:   ; @_Z14flat_id_kernelILj64ELj1ELj1EEvPj
; %bb.0:
	s_load_dwordx2 s[0:1], s[4:5], 0x0
	v_lshlrev_b32_e32 v1, 2, v0
	s_waitcnt lgkmcnt(0)
	global_store_dword v1, v0, s[0:1]
	s_endpgm
	.section	.rodata,"a",@progbits
	.p2align	6, 0x0
	.amdhsa_kernel _Z14flat_id_kernelILj64ELj1ELj1EEvPj
		.amdhsa_group_segment_fixed_size 0
		.amdhsa_private_segment_fixed_size 0
		.amdhsa_kernarg_size 8
		.amdhsa_user_sgpr_count 6
		.amdhsa_user_sgpr_private_segment_buffer 1
		.amdhsa_user_sgpr_dispatch_ptr 0
		.amdhsa_user_sgpr_queue_ptr 0
		.amdhsa_user_sgpr_kernarg_segment_ptr 1
		.amdhsa_user_sgpr_dispatch_id 0
		.amdhsa_user_sgpr_flat_scratch_init 0
		.amdhsa_user_sgpr_private_segment_size 0
		.amdhsa_uses_dynamic_stack 0
		.amdhsa_system_sgpr_private_segment_wavefront_offset 0
		.amdhsa_system_sgpr_workgroup_id_x 1
		.amdhsa_system_sgpr_workgroup_id_y 0
		.amdhsa_system_sgpr_workgroup_id_z 0
		.amdhsa_system_sgpr_workgroup_info 0
		.amdhsa_system_vgpr_workitem_id 0
		.amdhsa_next_free_vgpr 2
		.amdhsa_next_free_sgpr 6
		.amdhsa_reserve_vcc 0
		.amdhsa_reserve_flat_scratch 0
		.amdhsa_float_round_mode_32 0
		.amdhsa_float_round_mode_16_64 0
		.amdhsa_float_denorm_mode_32 3
		.amdhsa_float_denorm_mode_16_64 3
		.amdhsa_dx10_clamp 1
		.amdhsa_ieee_mode 1
		.amdhsa_fp16_overflow 0
		.amdhsa_exception_fp_ieee_invalid_op 0
		.amdhsa_exception_fp_denorm_src 0
		.amdhsa_exception_fp_ieee_div_zero 0
		.amdhsa_exception_fp_ieee_overflow 0
		.amdhsa_exception_fp_ieee_underflow 0
		.amdhsa_exception_fp_ieee_inexact 0
		.amdhsa_exception_int_div_zero 0
	.end_amdhsa_kernel
	.section	.text._Z14flat_id_kernelILj64ELj1ELj1EEvPj,"axG",@progbits,_Z14flat_id_kernelILj64ELj1ELj1EEvPj,comdat
.Lfunc_end16:
	.size	_Z14flat_id_kernelILj64ELj1ELj1EEvPj, .Lfunc_end16-_Z14flat_id_kernelILj64ELj1ELj1EEvPj
                                        ; -- End function
	.set _Z14flat_id_kernelILj64ELj1ELj1EEvPj.num_vgpr, 2
	.set _Z14flat_id_kernelILj64ELj1ELj1EEvPj.num_agpr, 0
	.set _Z14flat_id_kernelILj64ELj1ELj1EEvPj.numbered_sgpr, 6
	.set _Z14flat_id_kernelILj64ELj1ELj1EEvPj.num_named_barrier, 0
	.set _Z14flat_id_kernelILj64ELj1ELj1EEvPj.private_seg_size, 0
	.set _Z14flat_id_kernelILj64ELj1ELj1EEvPj.uses_vcc, 0
	.set _Z14flat_id_kernelILj64ELj1ELj1EEvPj.uses_flat_scratch, 0
	.set _Z14flat_id_kernelILj64ELj1ELj1EEvPj.has_dyn_sized_stack, 0
	.set _Z14flat_id_kernelILj64ELj1ELj1EEvPj.has_recursion, 0
	.set _Z14flat_id_kernelILj64ELj1ELj1EEvPj.has_indirect_call, 0
	.section	.AMDGPU.csdata,"",@progbits
; Kernel info:
; codeLenInByte = 28
; TotalNumSgprs: 10
; NumVgprs: 2
; ScratchSize: 0
; MemoryBound: 0
; FloatMode: 240
; IeeeMode: 1
; LDSByteSize: 0 bytes/workgroup (compile time only)
; SGPRBlocks: 1
; VGPRBlocks: 0
; NumSGPRsForWavesPerEU: 10
; NumVGPRsForWavesPerEU: 2
; Occupancy: 10
; WaveLimiterHint : 0
; COMPUTE_PGM_RSRC2:SCRATCH_EN: 0
; COMPUTE_PGM_RSRC2:USER_SGPR: 6
; COMPUTE_PGM_RSRC2:TRAP_HANDLER: 0
; COMPUTE_PGM_RSRC2:TGID_X_EN: 1
; COMPUTE_PGM_RSRC2:TGID_Y_EN: 0
; COMPUTE_PGM_RSRC2:TGID_Z_EN: 0
; COMPUTE_PGM_RSRC2:TIDIG_COMP_CNT: 0
	.section	.text._Z14flat_id_kernelILj32ELj1ELj1EEvPj,"axG",@progbits,_Z14flat_id_kernelILj32ELj1ELj1EEvPj,comdat
	.protected	_Z14flat_id_kernelILj32ELj1ELj1EEvPj ; -- Begin function _Z14flat_id_kernelILj32ELj1ELj1EEvPj
	.globl	_Z14flat_id_kernelILj32ELj1ELj1EEvPj
	.p2align	8
	.type	_Z14flat_id_kernelILj32ELj1ELj1EEvPj,@function
_Z14flat_id_kernelILj32ELj1ELj1EEvPj:   ; @_Z14flat_id_kernelILj32ELj1ELj1EEvPj
; %bb.0:
	s_load_dwordx2 s[0:1], s[4:5], 0x0
	v_lshlrev_b32_e32 v1, 2, v0
	s_waitcnt lgkmcnt(0)
	global_store_dword v1, v0, s[0:1]
	s_endpgm
	.section	.rodata,"a",@progbits
	.p2align	6, 0x0
	.amdhsa_kernel _Z14flat_id_kernelILj32ELj1ELj1EEvPj
		.amdhsa_group_segment_fixed_size 0
		.amdhsa_private_segment_fixed_size 0
		.amdhsa_kernarg_size 8
		.amdhsa_user_sgpr_count 6
		.amdhsa_user_sgpr_private_segment_buffer 1
		.amdhsa_user_sgpr_dispatch_ptr 0
		.amdhsa_user_sgpr_queue_ptr 0
		.amdhsa_user_sgpr_kernarg_segment_ptr 1
		.amdhsa_user_sgpr_dispatch_id 0
		.amdhsa_user_sgpr_flat_scratch_init 0
		.amdhsa_user_sgpr_private_segment_size 0
		.amdhsa_uses_dynamic_stack 0
		.amdhsa_system_sgpr_private_segment_wavefront_offset 0
		.amdhsa_system_sgpr_workgroup_id_x 1
		.amdhsa_system_sgpr_workgroup_id_y 0
		.amdhsa_system_sgpr_workgroup_id_z 0
		.amdhsa_system_sgpr_workgroup_info 0
		.amdhsa_system_vgpr_workitem_id 0
		.amdhsa_next_free_vgpr 2
		.amdhsa_next_free_sgpr 6
		.amdhsa_reserve_vcc 0
		.amdhsa_reserve_flat_scratch 0
		.amdhsa_float_round_mode_32 0
		.amdhsa_float_round_mode_16_64 0
		.amdhsa_float_denorm_mode_32 3
		.amdhsa_float_denorm_mode_16_64 3
		.amdhsa_dx10_clamp 1
		.amdhsa_ieee_mode 1
		.amdhsa_fp16_overflow 0
		.amdhsa_exception_fp_ieee_invalid_op 0
		.amdhsa_exception_fp_denorm_src 0
		.amdhsa_exception_fp_ieee_div_zero 0
		.amdhsa_exception_fp_ieee_overflow 0
		.amdhsa_exception_fp_ieee_underflow 0
		.amdhsa_exception_fp_ieee_inexact 0
		.amdhsa_exception_int_div_zero 0
	.end_amdhsa_kernel
	.section	.text._Z14flat_id_kernelILj32ELj1ELj1EEvPj,"axG",@progbits,_Z14flat_id_kernelILj32ELj1ELj1EEvPj,comdat
.Lfunc_end17:
	.size	_Z14flat_id_kernelILj32ELj1ELj1EEvPj, .Lfunc_end17-_Z14flat_id_kernelILj32ELj1ELj1EEvPj
                                        ; -- End function
	.set _Z14flat_id_kernelILj32ELj1ELj1EEvPj.num_vgpr, 2
	.set _Z14flat_id_kernelILj32ELj1ELj1EEvPj.num_agpr, 0
	.set _Z14flat_id_kernelILj32ELj1ELj1EEvPj.numbered_sgpr, 6
	.set _Z14flat_id_kernelILj32ELj1ELj1EEvPj.num_named_barrier, 0
	.set _Z14flat_id_kernelILj32ELj1ELj1EEvPj.private_seg_size, 0
	.set _Z14flat_id_kernelILj32ELj1ELj1EEvPj.uses_vcc, 0
	.set _Z14flat_id_kernelILj32ELj1ELj1EEvPj.uses_flat_scratch, 0
	.set _Z14flat_id_kernelILj32ELj1ELj1EEvPj.has_dyn_sized_stack, 0
	.set _Z14flat_id_kernelILj32ELj1ELj1EEvPj.has_recursion, 0
	.set _Z14flat_id_kernelILj32ELj1ELj1EEvPj.has_indirect_call, 0
	.section	.AMDGPU.csdata,"",@progbits
; Kernel info:
; codeLenInByte = 28
; TotalNumSgprs: 10
; NumVgprs: 2
; ScratchSize: 0
; MemoryBound: 0
; FloatMode: 240
; IeeeMode: 1
; LDSByteSize: 0 bytes/workgroup (compile time only)
; SGPRBlocks: 1
; VGPRBlocks: 0
; NumSGPRsForWavesPerEU: 10
; NumVGPRsForWavesPerEU: 2
; Occupancy: 10
; WaveLimiterHint : 0
; COMPUTE_PGM_RSRC2:SCRATCH_EN: 0
; COMPUTE_PGM_RSRC2:USER_SGPR: 6
; COMPUTE_PGM_RSRC2:TRAP_HANDLER: 0
; COMPUTE_PGM_RSRC2:TGID_X_EN: 1
; COMPUTE_PGM_RSRC2:TGID_Y_EN: 0
; COMPUTE_PGM_RSRC2:TGID_Z_EN: 0
; COMPUTE_PGM_RSRC2:TIDIG_COMP_CNT: 0
	.section	.text._Z15block_id_kernelILj256ELj2ELj2EEvPj,"axG",@progbits,_Z15block_id_kernelILj256ELj2ELj2EEvPj,comdat
	.protected	_Z15block_id_kernelILj256ELj2ELj2EEvPj ; -- Begin function _Z15block_id_kernelILj256ELj2ELj2EEvPj
	.globl	_Z15block_id_kernelILj256ELj2ELj2EEvPj
	.p2align	8
	.type	_Z15block_id_kernelILj256ELj2ELj2EEvPj,@function
_Z15block_id_kernelILj256ELj2ELj2EEvPj: ; @_Z15block_id_kernelILj256ELj2ELj2EEvPj
; %bb.0:
	s_mov_b32 s1, 0
	v_cmp_ne_u32_e32 vcc, 0, v0
	s_and_saveexec_b64 s[2:3], vcc
	s_cbranch_execz .LBB18_2
; %bb.1:
	s_load_dwordx4 s[12:15], s[4:5], 0x0
	v_mov_b32_e32 v0, 0
	s_waitcnt lgkmcnt(0)
	s_mul_i32 s0, s15, s8
	s_add_i32 s0, s0, s7
	s_mul_i32 s0, s0, s14
	s_add_i32 s0, s0, s6
	s_lshl_b64 s[2:3], s[0:1], 2
	s_add_u32 s2, s12, s2
	s_addc_u32 s3, s13, s3
	v_mov_b32_e32 v1, s0
	global_store_dword v0, v1, s[2:3]
.LBB18_2:
	s_endpgm
	.section	.rodata,"a",@progbits
	.p2align	6, 0x0
	.amdhsa_kernel _Z15block_id_kernelILj256ELj2ELj2EEvPj
		.amdhsa_group_segment_fixed_size 0
		.amdhsa_private_segment_fixed_size 0
		.amdhsa_kernarg_size 264
		.amdhsa_user_sgpr_count 6
		.amdhsa_user_sgpr_private_segment_buffer 1
		.amdhsa_user_sgpr_dispatch_ptr 0
		.amdhsa_user_sgpr_queue_ptr 0
		.amdhsa_user_sgpr_kernarg_segment_ptr 1
		.amdhsa_user_sgpr_dispatch_id 0
		.amdhsa_user_sgpr_flat_scratch_init 0
		.amdhsa_user_sgpr_private_segment_size 0
		.amdhsa_uses_dynamic_stack 0
		.amdhsa_system_sgpr_private_segment_wavefront_offset 0
		.amdhsa_system_sgpr_workgroup_id_x 1
		.amdhsa_system_sgpr_workgroup_id_y 1
		.amdhsa_system_sgpr_workgroup_id_z 1
		.amdhsa_system_sgpr_workgroup_info 0
		.amdhsa_system_vgpr_workitem_id 0
		.amdhsa_next_free_vgpr 2
		.amdhsa_next_free_sgpr 16
		.amdhsa_reserve_vcc 1
		.amdhsa_reserve_flat_scratch 0
		.amdhsa_float_round_mode_32 0
		.amdhsa_float_round_mode_16_64 0
		.amdhsa_float_denorm_mode_32 3
		.amdhsa_float_denorm_mode_16_64 3
		.amdhsa_dx10_clamp 1
		.amdhsa_ieee_mode 1
		.amdhsa_fp16_overflow 0
		.amdhsa_exception_fp_ieee_invalid_op 0
		.amdhsa_exception_fp_denorm_src 0
		.amdhsa_exception_fp_ieee_div_zero 0
		.amdhsa_exception_fp_ieee_overflow 0
		.amdhsa_exception_fp_ieee_underflow 0
		.amdhsa_exception_fp_ieee_inexact 0
		.amdhsa_exception_int_div_zero 0
	.end_amdhsa_kernel
	.section	.text._Z15block_id_kernelILj256ELj2ELj2EEvPj,"axG",@progbits,_Z15block_id_kernelILj256ELj2ELj2EEvPj,comdat
.Lfunc_end18:
	.size	_Z15block_id_kernelILj256ELj2ELj2EEvPj, .Lfunc_end18-_Z15block_id_kernelILj256ELj2ELj2EEvPj
                                        ; -- End function
	.set _Z15block_id_kernelILj256ELj2ELj2EEvPj.num_vgpr, 2
	.set _Z15block_id_kernelILj256ELj2ELj2EEvPj.num_agpr, 0
	.set _Z15block_id_kernelILj256ELj2ELj2EEvPj.numbered_sgpr, 16
	.set _Z15block_id_kernelILj256ELj2ELj2EEvPj.num_named_barrier, 0
	.set _Z15block_id_kernelILj256ELj2ELj2EEvPj.private_seg_size, 0
	.set _Z15block_id_kernelILj256ELj2ELj2EEvPj.uses_vcc, 1
	.set _Z15block_id_kernelILj256ELj2ELj2EEvPj.uses_flat_scratch, 0
	.set _Z15block_id_kernelILj256ELj2ELj2EEvPj.has_dyn_sized_stack, 0
	.set _Z15block_id_kernelILj256ELj2ELj2EEvPj.has_recursion, 0
	.set _Z15block_id_kernelILj256ELj2ELj2EEvPj.has_indirect_call, 0
	.section	.AMDGPU.csdata,"",@progbits
; Kernel info:
; codeLenInByte = 76
; TotalNumSgprs: 20
; NumVgprs: 2
; ScratchSize: 0
; MemoryBound: 0
; FloatMode: 240
; IeeeMode: 1
; LDSByteSize: 0 bytes/workgroup (compile time only)
; SGPRBlocks: 2
; VGPRBlocks: 0
; NumSGPRsForWavesPerEU: 20
; NumVGPRsForWavesPerEU: 2
; Occupancy: 10
; WaveLimiterHint : 0
; COMPUTE_PGM_RSRC2:SCRATCH_EN: 0
; COMPUTE_PGM_RSRC2:USER_SGPR: 6
; COMPUTE_PGM_RSRC2:TRAP_HANDLER: 0
; COMPUTE_PGM_RSRC2:TGID_X_EN: 1
; COMPUTE_PGM_RSRC2:TGID_Y_EN: 1
; COMPUTE_PGM_RSRC2:TGID_Z_EN: 1
; COMPUTE_PGM_RSRC2:TIDIG_COMP_CNT: 0
	.section	.text._Z15block_id_kernelILj128ELj2ELj2EEvPj,"axG",@progbits,_Z15block_id_kernelILj128ELj2ELj2EEvPj,comdat
	.protected	_Z15block_id_kernelILj128ELj2ELj2EEvPj ; -- Begin function _Z15block_id_kernelILj128ELj2ELj2EEvPj
	.globl	_Z15block_id_kernelILj128ELj2ELj2EEvPj
	.p2align	8
	.type	_Z15block_id_kernelILj128ELj2ELj2EEvPj,@function
_Z15block_id_kernelILj128ELj2ELj2EEvPj: ; @_Z15block_id_kernelILj128ELj2ELj2EEvPj
; %bb.0:
	s_mov_b32 s1, 0
	v_cmp_ne_u32_e32 vcc, 0, v0
	s_and_saveexec_b64 s[2:3], vcc
	s_cbranch_execz .LBB19_2
; %bb.1:
	s_load_dwordx4 s[12:15], s[4:5], 0x0
	v_mov_b32_e32 v0, 0
	s_waitcnt lgkmcnt(0)
	s_mul_i32 s0, s15, s8
	s_add_i32 s0, s0, s7
	s_mul_i32 s0, s0, s14
	s_add_i32 s0, s0, s6
	s_lshl_b64 s[2:3], s[0:1], 2
	s_add_u32 s2, s12, s2
	s_addc_u32 s3, s13, s3
	v_mov_b32_e32 v1, s0
	global_store_dword v0, v1, s[2:3]
.LBB19_2:
	s_endpgm
	.section	.rodata,"a",@progbits
	.p2align	6, 0x0
	.amdhsa_kernel _Z15block_id_kernelILj128ELj2ELj2EEvPj
		.amdhsa_group_segment_fixed_size 0
		.amdhsa_private_segment_fixed_size 0
		.amdhsa_kernarg_size 264
		.amdhsa_user_sgpr_count 6
		.amdhsa_user_sgpr_private_segment_buffer 1
		.amdhsa_user_sgpr_dispatch_ptr 0
		.amdhsa_user_sgpr_queue_ptr 0
		.amdhsa_user_sgpr_kernarg_segment_ptr 1
		.amdhsa_user_sgpr_dispatch_id 0
		.amdhsa_user_sgpr_flat_scratch_init 0
		.amdhsa_user_sgpr_private_segment_size 0
		.amdhsa_uses_dynamic_stack 0
		.amdhsa_system_sgpr_private_segment_wavefront_offset 0
		.amdhsa_system_sgpr_workgroup_id_x 1
		.amdhsa_system_sgpr_workgroup_id_y 1
		.amdhsa_system_sgpr_workgroup_id_z 1
		.amdhsa_system_sgpr_workgroup_info 0
		.amdhsa_system_vgpr_workitem_id 0
		.amdhsa_next_free_vgpr 2
		.amdhsa_next_free_sgpr 16
		.amdhsa_reserve_vcc 1
		.amdhsa_reserve_flat_scratch 0
		.amdhsa_float_round_mode_32 0
		.amdhsa_float_round_mode_16_64 0
		.amdhsa_float_denorm_mode_32 3
		.amdhsa_float_denorm_mode_16_64 3
		.amdhsa_dx10_clamp 1
		.amdhsa_ieee_mode 1
		.amdhsa_fp16_overflow 0
		.amdhsa_exception_fp_ieee_invalid_op 0
		.amdhsa_exception_fp_denorm_src 0
		.amdhsa_exception_fp_ieee_div_zero 0
		.amdhsa_exception_fp_ieee_overflow 0
		.amdhsa_exception_fp_ieee_underflow 0
		.amdhsa_exception_fp_ieee_inexact 0
		.amdhsa_exception_int_div_zero 0
	.end_amdhsa_kernel
	.section	.text._Z15block_id_kernelILj128ELj2ELj2EEvPj,"axG",@progbits,_Z15block_id_kernelILj128ELj2ELj2EEvPj,comdat
.Lfunc_end19:
	.size	_Z15block_id_kernelILj128ELj2ELj2EEvPj, .Lfunc_end19-_Z15block_id_kernelILj128ELj2ELj2EEvPj
                                        ; -- End function
	.set _Z15block_id_kernelILj128ELj2ELj2EEvPj.num_vgpr, 2
	.set _Z15block_id_kernelILj128ELj2ELj2EEvPj.num_agpr, 0
	.set _Z15block_id_kernelILj128ELj2ELj2EEvPj.numbered_sgpr, 16
	.set _Z15block_id_kernelILj128ELj2ELj2EEvPj.num_named_barrier, 0
	.set _Z15block_id_kernelILj128ELj2ELj2EEvPj.private_seg_size, 0
	.set _Z15block_id_kernelILj128ELj2ELj2EEvPj.uses_vcc, 1
	.set _Z15block_id_kernelILj128ELj2ELj2EEvPj.uses_flat_scratch, 0
	.set _Z15block_id_kernelILj128ELj2ELj2EEvPj.has_dyn_sized_stack, 0
	.set _Z15block_id_kernelILj128ELj2ELj2EEvPj.has_recursion, 0
	.set _Z15block_id_kernelILj128ELj2ELj2EEvPj.has_indirect_call, 0
	.section	.AMDGPU.csdata,"",@progbits
; Kernel info:
; codeLenInByte = 76
; TotalNumSgprs: 20
; NumVgprs: 2
; ScratchSize: 0
; MemoryBound: 0
; FloatMode: 240
; IeeeMode: 1
; LDSByteSize: 0 bytes/workgroup (compile time only)
; SGPRBlocks: 2
; VGPRBlocks: 0
; NumSGPRsForWavesPerEU: 20
; NumVGPRsForWavesPerEU: 2
; Occupancy: 10
; WaveLimiterHint : 0
; COMPUTE_PGM_RSRC2:SCRATCH_EN: 0
; COMPUTE_PGM_RSRC2:USER_SGPR: 6
; COMPUTE_PGM_RSRC2:TRAP_HANDLER: 0
; COMPUTE_PGM_RSRC2:TGID_X_EN: 1
; COMPUTE_PGM_RSRC2:TGID_Y_EN: 1
; COMPUTE_PGM_RSRC2:TGID_Z_EN: 1
; COMPUTE_PGM_RSRC2:TIDIG_COMP_CNT: 0
	.section	.text._Z15block_id_kernelILj64ELj2ELj2EEvPj,"axG",@progbits,_Z15block_id_kernelILj64ELj2ELj2EEvPj,comdat
	.protected	_Z15block_id_kernelILj64ELj2ELj2EEvPj ; -- Begin function _Z15block_id_kernelILj64ELj2ELj2EEvPj
	.globl	_Z15block_id_kernelILj64ELj2ELj2EEvPj
	.p2align	8
	.type	_Z15block_id_kernelILj64ELj2ELj2EEvPj,@function
_Z15block_id_kernelILj64ELj2ELj2EEvPj:  ; @_Z15block_id_kernelILj64ELj2ELj2EEvPj
; %bb.0:
	s_mov_b32 s1, 0
	v_cmp_ne_u32_e32 vcc, 0, v0
	s_and_saveexec_b64 s[2:3], vcc
	s_cbranch_execz .LBB20_2
; %bb.1:
	s_load_dwordx4 s[12:15], s[4:5], 0x0
	v_mov_b32_e32 v0, 0
	s_waitcnt lgkmcnt(0)
	s_mul_i32 s0, s15, s8
	s_add_i32 s0, s0, s7
	s_mul_i32 s0, s0, s14
	s_add_i32 s0, s0, s6
	s_lshl_b64 s[2:3], s[0:1], 2
	s_add_u32 s2, s12, s2
	s_addc_u32 s3, s13, s3
	v_mov_b32_e32 v1, s0
	global_store_dword v0, v1, s[2:3]
.LBB20_2:
	s_endpgm
	.section	.rodata,"a",@progbits
	.p2align	6, 0x0
	.amdhsa_kernel _Z15block_id_kernelILj64ELj2ELj2EEvPj
		.amdhsa_group_segment_fixed_size 0
		.amdhsa_private_segment_fixed_size 0
		.amdhsa_kernarg_size 264
		.amdhsa_user_sgpr_count 6
		.amdhsa_user_sgpr_private_segment_buffer 1
		.amdhsa_user_sgpr_dispatch_ptr 0
		.amdhsa_user_sgpr_queue_ptr 0
		.amdhsa_user_sgpr_kernarg_segment_ptr 1
		.amdhsa_user_sgpr_dispatch_id 0
		.amdhsa_user_sgpr_flat_scratch_init 0
		.amdhsa_user_sgpr_private_segment_size 0
		.amdhsa_uses_dynamic_stack 0
		.amdhsa_system_sgpr_private_segment_wavefront_offset 0
		.amdhsa_system_sgpr_workgroup_id_x 1
		.amdhsa_system_sgpr_workgroup_id_y 1
		.amdhsa_system_sgpr_workgroup_id_z 1
		.amdhsa_system_sgpr_workgroup_info 0
		.amdhsa_system_vgpr_workitem_id 0
		.amdhsa_next_free_vgpr 2
		.amdhsa_next_free_sgpr 16
		.amdhsa_reserve_vcc 1
		.amdhsa_reserve_flat_scratch 0
		.amdhsa_float_round_mode_32 0
		.amdhsa_float_round_mode_16_64 0
		.amdhsa_float_denorm_mode_32 3
		.amdhsa_float_denorm_mode_16_64 3
		.amdhsa_dx10_clamp 1
		.amdhsa_ieee_mode 1
		.amdhsa_fp16_overflow 0
		.amdhsa_exception_fp_ieee_invalid_op 0
		.amdhsa_exception_fp_denorm_src 0
		.amdhsa_exception_fp_ieee_div_zero 0
		.amdhsa_exception_fp_ieee_overflow 0
		.amdhsa_exception_fp_ieee_underflow 0
		.amdhsa_exception_fp_ieee_inexact 0
		.amdhsa_exception_int_div_zero 0
	.end_amdhsa_kernel
	.section	.text._Z15block_id_kernelILj64ELj2ELj2EEvPj,"axG",@progbits,_Z15block_id_kernelILj64ELj2ELj2EEvPj,comdat
.Lfunc_end20:
	.size	_Z15block_id_kernelILj64ELj2ELj2EEvPj, .Lfunc_end20-_Z15block_id_kernelILj64ELj2ELj2EEvPj
                                        ; -- End function
	.set _Z15block_id_kernelILj64ELj2ELj2EEvPj.num_vgpr, 2
	.set _Z15block_id_kernelILj64ELj2ELj2EEvPj.num_agpr, 0
	.set _Z15block_id_kernelILj64ELj2ELj2EEvPj.numbered_sgpr, 16
	.set _Z15block_id_kernelILj64ELj2ELj2EEvPj.num_named_barrier, 0
	.set _Z15block_id_kernelILj64ELj2ELj2EEvPj.private_seg_size, 0
	.set _Z15block_id_kernelILj64ELj2ELj2EEvPj.uses_vcc, 1
	.set _Z15block_id_kernelILj64ELj2ELj2EEvPj.uses_flat_scratch, 0
	.set _Z15block_id_kernelILj64ELj2ELj2EEvPj.has_dyn_sized_stack, 0
	.set _Z15block_id_kernelILj64ELj2ELj2EEvPj.has_recursion, 0
	.set _Z15block_id_kernelILj64ELj2ELj2EEvPj.has_indirect_call, 0
	.section	.AMDGPU.csdata,"",@progbits
; Kernel info:
; codeLenInByte = 76
; TotalNumSgprs: 20
; NumVgprs: 2
; ScratchSize: 0
; MemoryBound: 0
; FloatMode: 240
; IeeeMode: 1
; LDSByteSize: 0 bytes/workgroup (compile time only)
; SGPRBlocks: 2
; VGPRBlocks: 0
; NumSGPRsForWavesPerEU: 20
; NumVGPRsForWavesPerEU: 2
; Occupancy: 10
; WaveLimiterHint : 0
; COMPUTE_PGM_RSRC2:SCRATCH_EN: 0
; COMPUTE_PGM_RSRC2:USER_SGPR: 6
; COMPUTE_PGM_RSRC2:TRAP_HANDLER: 0
; COMPUTE_PGM_RSRC2:TGID_X_EN: 1
; COMPUTE_PGM_RSRC2:TGID_Y_EN: 1
; COMPUTE_PGM_RSRC2:TGID_Z_EN: 1
; COMPUTE_PGM_RSRC2:TIDIG_COMP_CNT: 0
	.section	.text._Z15block_id_kernelILj32ELj2ELj2EEvPj,"axG",@progbits,_Z15block_id_kernelILj32ELj2ELj2EEvPj,comdat
	.protected	_Z15block_id_kernelILj32ELj2ELj2EEvPj ; -- Begin function _Z15block_id_kernelILj32ELj2ELj2EEvPj
	.globl	_Z15block_id_kernelILj32ELj2ELj2EEvPj
	.p2align	8
	.type	_Z15block_id_kernelILj32ELj2ELj2EEvPj,@function
_Z15block_id_kernelILj32ELj2ELj2EEvPj:  ; @_Z15block_id_kernelILj32ELj2ELj2EEvPj
; %bb.0:
	s_mov_b32 s1, 0
	v_cmp_ne_u32_e32 vcc, 0, v0
	s_and_saveexec_b64 s[2:3], vcc
	s_cbranch_execz .LBB21_2
; %bb.1:
	s_load_dwordx4 s[12:15], s[4:5], 0x0
	v_mov_b32_e32 v0, 0
	s_waitcnt lgkmcnt(0)
	s_mul_i32 s0, s15, s8
	s_add_i32 s0, s0, s7
	s_mul_i32 s0, s0, s14
	s_add_i32 s0, s0, s6
	s_lshl_b64 s[2:3], s[0:1], 2
	s_add_u32 s2, s12, s2
	s_addc_u32 s3, s13, s3
	v_mov_b32_e32 v1, s0
	global_store_dword v0, v1, s[2:3]
.LBB21_2:
	s_endpgm
	.section	.rodata,"a",@progbits
	.p2align	6, 0x0
	.amdhsa_kernel _Z15block_id_kernelILj32ELj2ELj2EEvPj
		.amdhsa_group_segment_fixed_size 0
		.amdhsa_private_segment_fixed_size 0
		.amdhsa_kernarg_size 264
		.amdhsa_user_sgpr_count 6
		.amdhsa_user_sgpr_private_segment_buffer 1
		.amdhsa_user_sgpr_dispatch_ptr 0
		.amdhsa_user_sgpr_queue_ptr 0
		.amdhsa_user_sgpr_kernarg_segment_ptr 1
		.amdhsa_user_sgpr_dispatch_id 0
		.amdhsa_user_sgpr_flat_scratch_init 0
		.amdhsa_user_sgpr_private_segment_size 0
		.amdhsa_uses_dynamic_stack 0
		.amdhsa_system_sgpr_private_segment_wavefront_offset 0
		.amdhsa_system_sgpr_workgroup_id_x 1
		.amdhsa_system_sgpr_workgroup_id_y 1
		.amdhsa_system_sgpr_workgroup_id_z 1
		.amdhsa_system_sgpr_workgroup_info 0
		.amdhsa_system_vgpr_workitem_id 0
		.amdhsa_next_free_vgpr 2
		.amdhsa_next_free_sgpr 16
		.amdhsa_reserve_vcc 1
		.amdhsa_reserve_flat_scratch 0
		.amdhsa_float_round_mode_32 0
		.amdhsa_float_round_mode_16_64 0
		.amdhsa_float_denorm_mode_32 3
		.amdhsa_float_denorm_mode_16_64 3
		.amdhsa_dx10_clamp 1
		.amdhsa_ieee_mode 1
		.amdhsa_fp16_overflow 0
		.amdhsa_exception_fp_ieee_invalid_op 0
		.amdhsa_exception_fp_denorm_src 0
		.amdhsa_exception_fp_ieee_div_zero 0
		.amdhsa_exception_fp_ieee_overflow 0
		.amdhsa_exception_fp_ieee_underflow 0
		.amdhsa_exception_fp_ieee_inexact 0
		.amdhsa_exception_int_div_zero 0
	.end_amdhsa_kernel
	.section	.text._Z15block_id_kernelILj32ELj2ELj2EEvPj,"axG",@progbits,_Z15block_id_kernelILj32ELj2ELj2EEvPj,comdat
.Lfunc_end21:
	.size	_Z15block_id_kernelILj32ELj2ELj2EEvPj, .Lfunc_end21-_Z15block_id_kernelILj32ELj2ELj2EEvPj
                                        ; -- End function
	.set _Z15block_id_kernelILj32ELj2ELj2EEvPj.num_vgpr, 2
	.set _Z15block_id_kernelILj32ELj2ELj2EEvPj.num_agpr, 0
	.set _Z15block_id_kernelILj32ELj2ELj2EEvPj.numbered_sgpr, 16
	.set _Z15block_id_kernelILj32ELj2ELj2EEvPj.num_named_barrier, 0
	.set _Z15block_id_kernelILj32ELj2ELj2EEvPj.private_seg_size, 0
	.set _Z15block_id_kernelILj32ELj2ELj2EEvPj.uses_vcc, 1
	.set _Z15block_id_kernelILj32ELj2ELj2EEvPj.uses_flat_scratch, 0
	.set _Z15block_id_kernelILj32ELj2ELj2EEvPj.has_dyn_sized_stack, 0
	.set _Z15block_id_kernelILj32ELj2ELj2EEvPj.has_recursion, 0
	.set _Z15block_id_kernelILj32ELj2ELj2EEvPj.has_indirect_call, 0
	.section	.AMDGPU.csdata,"",@progbits
; Kernel info:
; codeLenInByte = 76
; TotalNumSgprs: 20
; NumVgprs: 2
; ScratchSize: 0
; MemoryBound: 0
; FloatMode: 240
; IeeeMode: 1
; LDSByteSize: 0 bytes/workgroup (compile time only)
; SGPRBlocks: 2
; VGPRBlocks: 0
; NumSGPRsForWavesPerEU: 20
; NumVGPRsForWavesPerEU: 2
; Occupancy: 10
; WaveLimiterHint : 0
; COMPUTE_PGM_RSRC2:SCRATCH_EN: 0
; COMPUTE_PGM_RSRC2:USER_SGPR: 6
; COMPUTE_PGM_RSRC2:TRAP_HANDLER: 0
; COMPUTE_PGM_RSRC2:TGID_X_EN: 1
; COMPUTE_PGM_RSRC2:TGID_Y_EN: 1
; COMPUTE_PGM_RSRC2:TGID_Z_EN: 1
; COMPUTE_PGM_RSRC2:TIDIG_COMP_CNT: 0
	.section	.text._Z15block_id_kernelILj16ELj2ELj2EEvPj,"axG",@progbits,_Z15block_id_kernelILj16ELj2ELj2EEvPj,comdat
	.protected	_Z15block_id_kernelILj16ELj2ELj2EEvPj ; -- Begin function _Z15block_id_kernelILj16ELj2ELj2EEvPj
	.globl	_Z15block_id_kernelILj16ELj2ELj2EEvPj
	.p2align	8
	.type	_Z15block_id_kernelILj16ELj2ELj2EEvPj,@function
_Z15block_id_kernelILj16ELj2ELj2EEvPj:  ; @_Z15block_id_kernelILj16ELj2ELj2EEvPj
; %bb.0:
	s_mov_b32 s1, 0
	v_cmp_ne_u32_e32 vcc, 0, v0
	s_and_saveexec_b64 s[2:3], vcc
	s_cbranch_execz .LBB22_2
; %bb.1:
	s_load_dwordx4 s[12:15], s[4:5], 0x0
	v_mov_b32_e32 v0, 0
	s_waitcnt lgkmcnt(0)
	s_mul_i32 s0, s15, s8
	s_add_i32 s0, s0, s7
	s_mul_i32 s0, s0, s14
	s_add_i32 s0, s0, s6
	s_lshl_b64 s[2:3], s[0:1], 2
	s_add_u32 s2, s12, s2
	s_addc_u32 s3, s13, s3
	v_mov_b32_e32 v1, s0
	global_store_dword v0, v1, s[2:3]
.LBB22_2:
	s_endpgm
	.section	.rodata,"a",@progbits
	.p2align	6, 0x0
	.amdhsa_kernel _Z15block_id_kernelILj16ELj2ELj2EEvPj
		.amdhsa_group_segment_fixed_size 0
		.amdhsa_private_segment_fixed_size 0
		.amdhsa_kernarg_size 264
		.amdhsa_user_sgpr_count 6
		.amdhsa_user_sgpr_private_segment_buffer 1
		.amdhsa_user_sgpr_dispatch_ptr 0
		.amdhsa_user_sgpr_queue_ptr 0
		.amdhsa_user_sgpr_kernarg_segment_ptr 1
		.amdhsa_user_sgpr_dispatch_id 0
		.amdhsa_user_sgpr_flat_scratch_init 0
		.amdhsa_user_sgpr_private_segment_size 0
		.amdhsa_uses_dynamic_stack 0
		.amdhsa_system_sgpr_private_segment_wavefront_offset 0
		.amdhsa_system_sgpr_workgroup_id_x 1
		.amdhsa_system_sgpr_workgroup_id_y 1
		.amdhsa_system_sgpr_workgroup_id_z 1
		.amdhsa_system_sgpr_workgroup_info 0
		.amdhsa_system_vgpr_workitem_id 0
		.amdhsa_next_free_vgpr 2
		.amdhsa_next_free_sgpr 16
		.amdhsa_reserve_vcc 1
		.amdhsa_reserve_flat_scratch 0
		.amdhsa_float_round_mode_32 0
		.amdhsa_float_round_mode_16_64 0
		.amdhsa_float_denorm_mode_32 3
		.amdhsa_float_denorm_mode_16_64 3
		.amdhsa_dx10_clamp 1
		.amdhsa_ieee_mode 1
		.amdhsa_fp16_overflow 0
		.amdhsa_exception_fp_ieee_invalid_op 0
		.amdhsa_exception_fp_denorm_src 0
		.amdhsa_exception_fp_ieee_div_zero 0
		.amdhsa_exception_fp_ieee_overflow 0
		.amdhsa_exception_fp_ieee_underflow 0
		.amdhsa_exception_fp_ieee_inexact 0
		.amdhsa_exception_int_div_zero 0
	.end_amdhsa_kernel
	.section	.text._Z15block_id_kernelILj16ELj2ELj2EEvPj,"axG",@progbits,_Z15block_id_kernelILj16ELj2ELj2EEvPj,comdat
.Lfunc_end22:
	.size	_Z15block_id_kernelILj16ELj2ELj2EEvPj, .Lfunc_end22-_Z15block_id_kernelILj16ELj2ELj2EEvPj
                                        ; -- End function
	.set _Z15block_id_kernelILj16ELj2ELj2EEvPj.num_vgpr, 2
	.set _Z15block_id_kernelILj16ELj2ELj2EEvPj.num_agpr, 0
	.set _Z15block_id_kernelILj16ELj2ELj2EEvPj.numbered_sgpr, 16
	.set _Z15block_id_kernelILj16ELj2ELj2EEvPj.num_named_barrier, 0
	.set _Z15block_id_kernelILj16ELj2ELj2EEvPj.private_seg_size, 0
	.set _Z15block_id_kernelILj16ELj2ELj2EEvPj.uses_vcc, 1
	.set _Z15block_id_kernelILj16ELj2ELj2EEvPj.uses_flat_scratch, 0
	.set _Z15block_id_kernelILj16ELj2ELj2EEvPj.has_dyn_sized_stack, 0
	.set _Z15block_id_kernelILj16ELj2ELj2EEvPj.has_recursion, 0
	.set _Z15block_id_kernelILj16ELj2ELj2EEvPj.has_indirect_call, 0
	.section	.AMDGPU.csdata,"",@progbits
; Kernel info:
; codeLenInByte = 76
; TotalNumSgprs: 20
; NumVgprs: 2
; ScratchSize: 0
; MemoryBound: 0
; FloatMode: 240
; IeeeMode: 1
; LDSByteSize: 0 bytes/workgroup (compile time only)
; SGPRBlocks: 2
; VGPRBlocks: 0
; NumSGPRsForWavesPerEU: 20
; NumVGPRsForWavesPerEU: 2
; Occupancy: 10
; WaveLimiterHint : 0
; COMPUTE_PGM_RSRC2:SCRATCH_EN: 0
; COMPUTE_PGM_RSRC2:USER_SGPR: 6
; COMPUTE_PGM_RSRC2:TRAP_HANDLER: 0
; COMPUTE_PGM_RSRC2:TGID_X_EN: 1
; COMPUTE_PGM_RSRC2:TGID_Y_EN: 1
; COMPUTE_PGM_RSRC2:TGID_Z_EN: 1
; COMPUTE_PGM_RSRC2:TIDIG_COMP_CNT: 0
	.section	.text._Z15block_id_kernelILj8ELj2ELj2EEvPj,"axG",@progbits,_Z15block_id_kernelILj8ELj2ELj2EEvPj,comdat
	.protected	_Z15block_id_kernelILj8ELj2ELj2EEvPj ; -- Begin function _Z15block_id_kernelILj8ELj2ELj2EEvPj
	.globl	_Z15block_id_kernelILj8ELj2ELj2EEvPj
	.p2align	8
	.type	_Z15block_id_kernelILj8ELj2ELj2EEvPj,@function
_Z15block_id_kernelILj8ELj2ELj2EEvPj:   ; @_Z15block_id_kernelILj8ELj2ELj2EEvPj
; %bb.0:
	s_mov_b32 s1, 0
	v_cmp_ne_u32_e32 vcc, 0, v0
	s_and_saveexec_b64 s[2:3], vcc
	s_cbranch_execz .LBB23_2
; %bb.1:
	s_load_dwordx4 s[12:15], s[4:5], 0x0
	v_mov_b32_e32 v0, 0
	s_waitcnt lgkmcnt(0)
	s_mul_i32 s0, s15, s8
	s_add_i32 s0, s0, s7
	s_mul_i32 s0, s0, s14
	s_add_i32 s0, s0, s6
	s_lshl_b64 s[2:3], s[0:1], 2
	s_add_u32 s2, s12, s2
	s_addc_u32 s3, s13, s3
	v_mov_b32_e32 v1, s0
	global_store_dword v0, v1, s[2:3]
.LBB23_2:
	s_endpgm
	.section	.rodata,"a",@progbits
	.p2align	6, 0x0
	.amdhsa_kernel _Z15block_id_kernelILj8ELj2ELj2EEvPj
		.amdhsa_group_segment_fixed_size 0
		.amdhsa_private_segment_fixed_size 0
		.amdhsa_kernarg_size 264
		.amdhsa_user_sgpr_count 6
		.amdhsa_user_sgpr_private_segment_buffer 1
		.amdhsa_user_sgpr_dispatch_ptr 0
		.amdhsa_user_sgpr_queue_ptr 0
		.amdhsa_user_sgpr_kernarg_segment_ptr 1
		.amdhsa_user_sgpr_dispatch_id 0
		.amdhsa_user_sgpr_flat_scratch_init 0
		.amdhsa_user_sgpr_private_segment_size 0
		.amdhsa_uses_dynamic_stack 0
		.amdhsa_system_sgpr_private_segment_wavefront_offset 0
		.amdhsa_system_sgpr_workgroup_id_x 1
		.amdhsa_system_sgpr_workgroup_id_y 1
		.amdhsa_system_sgpr_workgroup_id_z 1
		.amdhsa_system_sgpr_workgroup_info 0
		.amdhsa_system_vgpr_workitem_id 0
		.amdhsa_next_free_vgpr 2
		.amdhsa_next_free_sgpr 16
		.amdhsa_reserve_vcc 1
		.amdhsa_reserve_flat_scratch 0
		.amdhsa_float_round_mode_32 0
		.amdhsa_float_round_mode_16_64 0
		.amdhsa_float_denorm_mode_32 3
		.amdhsa_float_denorm_mode_16_64 3
		.amdhsa_dx10_clamp 1
		.amdhsa_ieee_mode 1
		.amdhsa_fp16_overflow 0
		.amdhsa_exception_fp_ieee_invalid_op 0
		.amdhsa_exception_fp_denorm_src 0
		.amdhsa_exception_fp_ieee_div_zero 0
		.amdhsa_exception_fp_ieee_overflow 0
		.amdhsa_exception_fp_ieee_underflow 0
		.amdhsa_exception_fp_ieee_inexact 0
		.amdhsa_exception_int_div_zero 0
	.end_amdhsa_kernel
	.section	.text._Z15block_id_kernelILj8ELj2ELj2EEvPj,"axG",@progbits,_Z15block_id_kernelILj8ELj2ELj2EEvPj,comdat
.Lfunc_end23:
	.size	_Z15block_id_kernelILj8ELj2ELj2EEvPj, .Lfunc_end23-_Z15block_id_kernelILj8ELj2ELj2EEvPj
                                        ; -- End function
	.set _Z15block_id_kernelILj8ELj2ELj2EEvPj.num_vgpr, 2
	.set _Z15block_id_kernelILj8ELj2ELj2EEvPj.num_agpr, 0
	.set _Z15block_id_kernelILj8ELj2ELj2EEvPj.numbered_sgpr, 16
	.set _Z15block_id_kernelILj8ELj2ELj2EEvPj.num_named_barrier, 0
	.set _Z15block_id_kernelILj8ELj2ELj2EEvPj.private_seg_size, 0
	.set _Z15block_id_kernelILj8ELj2ELj2EEvPj.uses_vcc, 1
	.set _Z15block_id_kernelILj8ELj2ELj2EEvPj.uses_flat_scratch, 0
	.set _Z15block_id_kernelILj8ELj2ELj2EEvPj.has_dyn_sized_stack, 0
	.set _Z15block_id_kernelILj8ELj2ELj2EEvPj.has_recursion, 0
	.set _Z15block_id_kernelILj8ELj2ELj2EEvPj.has_indirect_call, 0
	.section	.AMDGPU.csdata,"",@progbits
; Kernel info:
; codeLenInByte = 76
; TotalNumSgprs: 20
; NumVgprs: 2
; ScratchSize: 0
; MemoryBound: 0
; FloatMode: 240
; IeeeMode: 1
; LDSByteSize: 0 bytes/workgroup (compile time only)
; SGPRBlocks: 2
; VGPRBlocks: 0
; NumSGPRsForWavesPerEU: 20
; NumVGPRsForWavesPerEU: 2
; Occupancy: 10
; WaveLimiterHint : 0
; COMPUTE_PGM_RSRC2:SCRATCH_EN: 0
; COMPUTE_PGM_RSRC2:USER_SGPR: 6
; COMPUTE_PGM_RSRC2:TRAP_HANDLER: 0
; COMPUTE_PGM_RSRC2:TGID_X_EN: 1
; COMPUTE_PGM_RSRC2:TGID_Y_EN: 1
; COMPUTE_PGM_RSRC2:TGID_Z_EN: 1
; COMPUTE_PGM_RSRC2:TIDIG_COMP_CNT: 0
	.section	.text._Z15block_id_kernelILj512ELj2ELj1EEvPj,"axG",@progbits,_Z15block_id_kernelILj512ELj2ELj1EEvPj,comdat
	.protected	_Z15block_id_kernelILj512ELj2ELj1EEvPj ; -- Begin function _Z15block_id_kernelILj512ELj2ELj1EEvPj
	.globl	_Z15block_id_kernelILj512ELj2ELj1EEvPj
	.p2align	8
	.type	_Z15block_id_kernelILj512ELj2ELj1EEvPj,@function
_Z15block_id_kernelILj512ELj2ELj1EEvPj: ; @_Z15block_id_kernelILj512ELj2ELj1EEvPj
; %bb.0:
	s_mov_b32 s1, 0
	v_cmp_ne_u32_e32 vcc, 0, v0
	s_and_saveexec_b64 s[2:3], vcc
	s_cbranch_execz .LBB24_2
; %bb.1:
	s_load_dword s0, s[4:5], 0x8
	s_load_dwordx2 s[2:3], s[4:5], 0x0
	v_mov_b32_e32 v0, 0
	s_waitcnt lgkmcnt(0)
	s_mul_i32 s0, s0, s7
	s_add_i32 s0, s0, s6
	s_lshl_b64 s[4:5], s[0:1], 2
	s_add_u32 s2, s2, s4
	s_addc_u32 s3, s3, s5
	v_mov_b32_e32 v1, s0
	global_store_dword v0, v1, s[2:3]
.LBB24_2:
	s_endpgm
	.section	.rodata,"a",@progbits
	.p2align	6, 0x0
	.amdhsa_kernel _Z15block_id_kernelILj512ELj2ELj1EEvPj
		.amdhsa_group_segment_fixed_size 0
		.amdhsa_private_segment_fixed_size 0
		.amdhsa_kernarg_size 264
		.amdhsa_user_sgpr_count 6
		.amdhsa_user_sgpr_private_segment_buffer 1
		.amdhsa_user_sgpr_dispatch_ptr 0
		.amdhsa_user_sgpr_queue_ptr 0
		.amdhsa_user_sgpr_kernarg_segment_ptr 1
		.amdhsa_user_sgpr_dispatch_id 0
		.amdhsa_user_sgpr_flat_scratch_init 0
		.amdhsa_user_sgpr_private_segment_size 0
		.amdhsa_uses_dynamic_stack 0
		.amdhsa_system_sgpr_private_segment_wavefront_offset 0
		.amdhsa_system_sgpr_workgroup_id_x 1
		.amdhsa_system_sgpr_workgroup_id_y 1
		.amdhsa_system_sgpr_workgroup_id_z 0
		.amdhsa_system_sgpr_workgroup_info 0
		.amdhsa_system_vgpr_workitem_id 0
		.amdhsa_next_free_vgpr 2
		.amdhsa_next_free_sgpr 8
		.amdhsa_reserve_vcc 1
		.amdhsa_reserve_flat_scratch 0
		.amdhsa_float_round_mode_32 0
		.amdhsa_float_round_mode_16_64 0
		.amdhsa_float_denorm_mode_32 3
		.amdhsa_float_denorm_mode_16_64 3
		.amdhsa_dx10_clamp 1
		.amdhsa_ieee_mode 1
		.amdhsa_fp16_overflow 0
		.amdhsa_exception_fp_ieee_invalid_op 0
		.amdhsa_exception_fp_denorm_src 0
		.amdhsa_exception_fp_ieee_div_zero 0
		.amdhsa_exception_fp_ieee_overflow 0
		.amdhsa_exception_fp_ieee_underflow 0
		.amdhsa_exception_fp_ieee_inexact 0
		.amdhsa_exception_int_div_zero 0
	.end_amdhsa_kernel
	.section	.text._Z15block_id_kernelILj512ELj2ELj1EEvPj,"axG",@progbits,_Z15block_id_kernelILj512ELj2ELj1EEvPj,comdat
.Lfunc_end24:
	.size	_Z15block_id_kernelILj512ELj2ELj1EEvPj, .Lfunc_end24-_Z15block_id_kernelILj512ELj2ELj1EEvPj
                                        ; -- End function
	.set _Z15block_id_kernelILj512ELj2ELj1EEvPj.num_vgpr, 2
	.set _Z15block_id_kernelILj512ELj2ELj1EEvPj.num_agpr, 0
	.set _Z15block_id_kernelILj512ELj2ELj1EEvPj.numbered_sgpr, 8
	.set _Z15block_id_kernelILj512ELj2ELj1EEvPj.num_named_barrier, 0
	.set _Z15block_id_kernelILj512ELj2ELj1EEvPj.private_seg_size, 0
	.set _Z15block_id_kernelILj512ELj2ELj1EEvPj.uses_vcc, 1
	.set _Z15block_id_kernelILj512ELj2ELj1EEvPj.uses_flat_scratch, 0
	.set _Z15block_id_kernelILj512ELj2ELj1EEvPj.has_dyn_sized_stack, 0
	.set _Z15block_id_kernelILj512ELj2ELj1EEvPj.has_recursion, 0
	.set _Z15block_id_kernelILj512ELj2ELj1EEvPj.has_indirect_call, 0
	.section	.AMDGPU.csdata,"",@progbits
; Kernel info:
; codeLenInByte = 76
; TotalNumSgprs: 12
; NumVgprs: 2
; ScratchSize: 0
; MemoryBound: 0
; FloatMode: 240
; IeeeMode: 1
; LDSByteSize: 0 bytes/workgroup (compile time only)
; SGPRBlocks: 1
; VGPRBlocks: 0
; NumSGPRsForWavesPerEU: 12
; NumVGPRsForWavesPerEU: 2
; Occupancy: 10
; WaveLimiterHint : 0
; COMPUTE_PGM_RSRC2:SCRATCH_EN: 0
; COMPUTE_PGM_RSRC2:USER_SGPR: 6
; COMPUTE_PGM_RSRC2:TRAP_HANDLER: 0
; COMPUTE_PGM_RSRC2:TGID_X_EN: 1
; COMPUTE_PGM_RSRC2:TGID_Y_EN: 1
; COMPUTE_PGM_RSRC2:TGID_Z_EN: 0
; COMPUTE_PGM_RSRC2:TIDIG_COMP_CNT: 0
	.section	.text._Z15block_id_kernelILj256ELj2ELj1EEvPj,"axG",@progbits,_Z15block_id_kernelILj256ELj2ELj1EEvPj,comdat
	.protected	_Z15block_id_kernelILj256ELj2ELj1EEvPj ; -- Begin function _Z15block_id_kernelILj256ELj2ELj1EEvPj
	.globl	_Z15block_id_kernelILj256ELj2ELj1EEvPj
	.p2align	8
	.type	_Z15block_id_kernelILj256ELj2ELj1EEvPj,@function
_Z15block_id_kernelILj256ELj2ELj1EEvPj: ; @_Z15block_id_kernelILj256ELj2ELj1EEvPj
; %bb.0:
	s_mov_b32 s1, 0
	v_cmp_ne_u32_e32 vcc, 0, v0
	s_and_saveexec_b64 s[2:3], vcc
	s_cbranch_execz .LBB25_2
; %bb.1:
	s_load_dword s0, s[4:5], 0x8
	s_load_dwordx2 s[2:3], s[4:5], 0x0
	v_mov_b32_e32 v0, 0
	s_waitcnt lgkmcnt(0)
	s_mul_i32 s0, s0, s7
	s_add_i32 s0, s0, s6
	s_lshl_b64 s[4:5], s[0:1], 2
	s_add_u32 s2, s2, s4
	s_addc_u32 s3, s3, s5
	v_mov_b32_e32 v1, s0
	global_store_dword v0, v1, s[2:3]
.LBB25_2:
	s_endpgm
	.section	.rodata,"a",@progbits
	.p2align	6, 0x0
	.amdhsa_kernel _Z15block_id_kernelILj256ELj2ELj1EEvPj
		.amdhsa_group_segment_fixed_size 0
		.amdhsa_private_segment_fixed_size 0
		.amdhsa_kernarg_size 264
		.amdhsa_user_sgpr_count 6
		.amdhsa_user_sgpr_private_segment_buffer 1
		.amdhsa_user_sgpr_dispatch_ptr 0
		.amdhsa_user_sgpr_queue_ptr 0
		.amdhsa_user_sgpr_kernarg_segment_ptr 1
		.amdhsa_user_sgpr_dispatch_id 0
		.amdhsa_user_sgpr_flat_scratch_init 0
		.amdhsa_user_sgpr_private_segment_size 0
		.amdhsa_uses_dynamic_stack 0
		.amdhsa_system_sgpr_private_segment_wavefront_offset 0
		.amdhsa_system_sgpr_workgroup_id_x 1
		.amdhsa_system_sgpr_workgroup_id_y 1
		.amdhsa_system_sgpr_workgroup_id_z 0
		.amdhsa_system_sgpr_workgroup_info 0
		.amdhsa_system_vgpr_workitem_id 0
		.amdhsa_next_free_vgpr 2
		.amdhsa_next_free_sgpr 8
		.amdhsa_reserve_vcc 1
		.amdhsa_reserve_flat_scratch 0
		.amdhsa_float_round_mode_32 0
		.amdhsa_float_round_mode_16_64 0
		.amdhsa_float_denorm_mode_32 3
		.amdhsa_float_denorm_mode_16_64 3
		.amdhsa_dx10_clamp 1
		.amdhsa_ieee_mode 1
		.amdhsa_fp16_overflow 0
		.amdhsa_exception_fp_ieee_invalid_op 0
		.amdhsa_exception_fp_denorm_src 0
		.amdhsa_exception_fp_ieee_div_zero 0
		.amdhsa_exception_fp_ieee_overflow 0
		.amdhsa_exception_fp_ieee_underflow 0
		.amdhsa_exception_fp_ieee_inexact 0
		.amdhsa_exception_int_div_zero 0
	.end_amdhsa_kernel
	.section	.text._Z15block_id_kernelILj256ELj2ELj1EEvPj,"axG",@progbits,_Z15block_id_kernelILj256ELj2ELj1EEvPj,comdat
.Lfunc_end25:
	.size	_Z15block_id_kernelILj256ELj2ELj1EEvPj, .Lfunc_end25-_Z15block_id_kernelILj256ELj2ELj1EEvPj
                                        ; -- End function
	.set _Z15block_id_kernelILj256ELj2ELj1EEvPj.num_vgpr, 2
	.set _Z15block_id_kernelILj256ELj2ELj1EEvPj.num_agpr, 0
	.set _Z15block_id_kernelILj256ELj2ELj1EEvPj.numbered_sgpr, 8
	.set _Z15block_id_kernelILj256ELj2ELj1EEvPj.num_named_barrier, 0
	.set _Z15block_id_kernelILj256ELj2ELj1EEvPj.private_seg_size, 0
	.set _Z15block_id_kernelILj256ELj2ELj1EEvPj.uses_vcc, 1
	.set _Z15block_id_kernelILj256ELj2ELj1EEvPj.uses_flat_scratch, 0
	.set _Z15block_id_kernelILj256ELj2ELj1EEvPj.has_dyn_sized_stack, 0
	.set _Z15block_id_kernelILj256ELj2ELj1EEvPj.has_recursion, 0
	.set _Z15block_id_kernelILj256ELj2ELj1EEvPj.has_indirect_call, 0
	.section	.AMDGPU.csdata,"",@progbits
; Kernel info:
; codeLenInByte = 76
; TotalNumSgprs: 12
; NumVgprs: 2
; ScratchSize: 0
; MemoryBound: 0
; FloatMode: 240
; IeeeMode: 1
; LDSByteSize: 0 bytes/workgroup (compile time only)
; SGPRBlocks: 1
; VGPRBlocks: 0
; NumSGPRsForWavesPerEU: 12
; NumVGPRsForWavesPerEU: 2
; Occupancy: 10
; WaveLimiterHint : 0
; COMPUTE_PGM_RSRC2:SCRATCH_EN: 0
; COMPUTE_PGM_RSRC2:USER_SGPR: 6
; COMPUTE_PGM_RSRC2:TRAP_HANDLER: 0
; COMPUTE_PGM_RSRC2:TGID_X_EN: 1
; COMPUTE_PGM_RSRC2:TGID_Y_EN: 1
; COMPUTE_PGM_RSRC2:TGID_Z_EN: 0
; COMPUTE_PGM_RSRC2:TIDIG_COMP_CNT: 0
	.section	.text._Z15block_id_kernelILj128ELj2ELj1EEvPj,"axG",@progbits,_Z15block_id_kernelILj128ELj2ELj1EEvPj,comdat
	.protected	_Z15block_id_kernelILj128ELj2ELj1EEvPj ; -- Begin function _Z15block_id_kernelILj128ELj2ELj1EEvPj
	.globl	_Z15block_id_kernelILj128ELj2ELj1EEvPj
	.p2align	8
	.type	_Z15block_id_kernelILj128ELj2ELj1EEvPj,@function
_Z15block_id_kernelILj128ELj2ELj1EEvPj: ; @_Z15block_id_kernelILj128ELj2ELj1EEvPj
; %bb.0:
	s_mov_b32 s1, 0
	v_cmp_ne_u32_e32 vcc, 0, v0
	s_and_saveexec_b64 s[2:3], vcc
	s_cbranch_execz .LBB26_2
; %bb.1:
	s_load_dword s0, s[4:5], 0x8
	s_load_dwordx2 s[2:3], s[4:5], 0x0
	v_mov_b32_e32 v0, 0
	s_waitcnt lgkmcnt(0)
	s_mul_i32 s0, s0, s7
	s_add_i32 s0, s0, s6
	s_lshl_b64 s[4:5], s[0:1], 2
	s_add_u32 s2, s2, s4
	s_addc_u32 s3, s3, s5
	v_mov_b32_e32 v1, s0
	global_store_dword v0, v1, s[2:3]
.LBB26_2:
	s_endpgm
	.section	.rodata,"a",@progbits
	.p2align	6, 0x0
	.amdhsa_kernel _Z15block_id_kernelILj128ELj2ELj1EEvPj
		.amdhsa_group_segment_fixed_size 0
		.amdhsa_private_segment_fixed_size 0
		.amdhsa_kernarg_size 264
		.amdhsa_user_sgpr_count 6
		.amdhsa_user_sgpr_private_segment_buffer 1
		.amdhsa_user_sgpr_dispatch_ptr 0
		.amdhsa_user_sgpr_queue_ptr 0
		.amdhsa_user_sgpr_kernarg_segment_ptr 1
		.amdhsa_user_sgpr_dispatch_id 0
		.amdhsa_user_sgpr_flat_scratch_init 0
		.amdhsa_user_sgpr_private_segment_size 0
		.amdhsa_uses_dynamic_stack 0
		.amdhsa_system_sgpr_private_segment_wavefront_offset 0
		.amdhsa_system_sgpr_workgroup_id_x 1
		.amdhsa_system_sgpr_workgroup_id_y 1
		.amdhsa_system_sgpr_workgroup_id_z 0
		.amdhsa_system_sgpr_workgroup_info 0
		.amdhsa_system_vgpr_workitem_id 0
		.amdhsa_next_free_vgpr 2
		.amdhsa_next_free_sgpr 8
		.amdhsa_reserve_vcc 1
		.amdhsa_reserve_flat_scratch 0
		.amdhsa_float_round_mode_32 0
		.amdhsa_float_round_mode_16_64 0
		.amdhsa_float_denorm_mode_32 3
		.amdhsa_float_denorm_mode_16_64 3
		.amdhsa_dx10_clamp 1
		.amdhsa_ieee_mode 1
		.amdhsa_fp16_overflow 0
		.amdhsa_exception_fp_ieee_invalid_op 0
		.amdhsa_exception_fp_denorm_src 0
		.amdhsa_exception_fp_ieee_div_zero 0
		.amdhsa_exception_fp_ieee_overflow 0
		.amdhsa_exception_fp_ieee_underflow 0
		.amdhsa_exception_fp_ieee_inexact 0
		.amdhsa_exception_int_div_zero 0
	.end_amdhsa_kernel
	.section	.text._Z15block_id_kernelILj128ELj2ELj1EEvPj,"axG",@progbits,_Z15block_id_kernelILj128ELj2ELj1EEvPj,comdat
.Lfunc_end26:
	.size	_Z15block_id_kernelILj128ELj2ELj1EEvPj, .Lfunc_end26-_Z15block_id_kernelILj128ELj2ELj1EEvPj
                                        ; -- End function
	.set _Z15block_id_kernelILj128ELj2ELj1EEvPj.num_vgpr, 2
	.set _Z15block_id_kernelILj128ELj2ELj1EEvPj.num_agpr, 0
	.set _Z15block_id_kernelILj128ELj2ELj1EEvPj.numbered_sgpr, 8
	.set _Z15block_id_kernelILj128ELj2ELj1EEvPj.num_named_barrier, 0
	.set _Z15block_id_kernelILj128ELj2ELj1EEvPj.private_seg_size, 0
	.set _Z15block_id_kernelILj128ELj2ELj1EEvPj.uses_vcc, 1
	.set _Z15block_id_kernelILj128ELj2ELj1EEvPj.uses_flat_scratch, 0
	.set _Z15block_id_kernelILj128ELj2ELj1EEvPj.has_dyn_sized_stack, 0
	.set _Z15block_id_kernelILj128ELj2ELj1EEvPj.has_recursion, 0
	.set _Z15block_id_kernelILj128ELj2ELj1EEvPj.has_indirect_call, 0
	.section	.AMDGPU.csdata,"",@progbits
; Kernel info:
; codeLenInByte = 76
; TotalNumSgprs: 12
; NumVgprs: 2
; ScratchSize: 0
; MemoryBound: 0
; FloatMode: 240
; IeeeMode: 1
; LDSByteSize: 0 bytes/workgroup (compile time only)
; SGPRBlocks: 1
; VGPRBlocks: 0
; NumSGPRsForWavesPerEU: 12
; NumVGPRsForWavesPerEU: 2
; Occupancy: 10
; WaveLimiterHint : 0
; COMPUTE_PGM_RSRC2:SCRATCH_EN: 0
; COMPUTE_PGM_RSRC2:USER_SGPR: 6
; COMPUTE_PGM_RSRC2:TRAP_HANDLER: 0
; COMPUTE_PGM_RSRC2:TGID_X_EN: 1
; COMPUTE_PGM_RSRC2:TGID_Y_EN: 1
; COMPUTE_PGM_RSRC2:TGID_Z_EN: 0
; COMPUTE_PGM_RSRC2:TIDIG_COMP_CNT: 0
	.section	.text._Z15block_id_kernelILj64ELj2ELj1EEvPj,"axG",@progbits,_Z15block_id_kernelILj64ELj2ELj1EEvPj,comdat
	.protected	_Z15block_id_kernelILj64ELj2ELj1EEvPj ; -- Begin function _Z15block_id_kernelILj64ELj2ELj1EEvPj
	.globl	_Z15block_id_kernelILj64ELj2ELj1EEvPj
	.p2align	8
	.type	_Z15block_id_kernelILj64ELj2ELj1EEvPj,@function
_Z15block_id_kernelILj64ELj2ELj1EEvPj:  ; @_Z15block_id_kernelILj64ELj2ELj1EEvPj
; %bb.0:
	s_mov_b32 s1, 0
	v_cmp_ne_u32_e32 vcc, 0, v0
	s_and_saveexec_b64 s[2:3], vcc
	s_cbranch_execz .LBB27_2
; %bb.1:
	s_load_dword s0, s[4:5], 0x8
	s_load_dwordx2 s[2:3], s[4:5], 0x0
	v_mov_b32_e32 v0, 0
	s_waitcnt lgkmcnt(0)
	s_mul_i32 s0, s0, s7
	s_add_i32 s0, s0, s6
	s_lshl_b64 s[4:5], s[0:1], 2
	s_add_u32 s2, s2, s4
	s_addc_u32 s3, s3, s5
	v_mov_b32_e32 v1, s0
	global_store_dword v0, v1, s[2:3]
.LBB27_2:
	s_endpgm
	.section	.rodata,"a",@progbits
	.p2align	6, 0x0
	.amdhsa_kernel _Z15block_id_kernelILj64ELj2ELj1EEvPj
		.amdhsa_group_segment_fixed_size 0
		.amdhsa_private_segment_fixed_size 0
		.amdhsa_kernarg_size 264
		.amdhsa_user_sgpr_count 6
		.amdhsa_user_sgpr_private_segment_buffer 1
		.amdhsa_user_sgpr_dispatch_ptr 0
		.amdhsa_user_sgpr_queue_ptr 0
		.amdhsa_user_sgpr_kernarg_segment_ptr 1
		.amdhsa_user_sgpr_dispatch_id 0
		.amdhsa_user_sgpr_flat_scratch_init 0
		.amdhsa_user_sgpr_private_segment_size 0
		.amdhsa_uses_dynamic_stack 0
		.amdhsa_system_sgpr_private_segment_wavefront_offset 0
		.amdhsa_system_sgpr_workgroup_id_x 1
		.amdhsa_system_sgpr_workgroup_id_y 1
		.amdhsa_system_sgpr_workgroup_id_z 0
		.amdhsa_system_sgpr_workgroup_info 0
		.amdhsa_system_vgpr_workitem_id 0
		.amdhsa_next_free_vgpr 2
		.amdhsa_next_free_sgpr 8
		.amdhsa_reserve_vcc 1
		.amdhsa_reserve_flat_scratch 0
		.amdhsa_float_round_mode_32 0
		.amdhsa_float_round_mode_16_64 0
		.amdhsa_float_denorm_mode_32 3
		.amdhsa_float_denorm_mode_16_64 3
		.amdhsa_dx10_clamp 1
		.amdhsa_ieee_mode 1
		.amdhsa_fp16_overflow 0
		.amdhsa_exception_fp_ieee_invalid_op 0
		.amdhsa_exception_fp_denorm_src 0
		.amdhsa_exception_fp_ieee_div_zero 0
		.amdhsa_exception_fp_ieee_overflow 0
		.amdhsa_exception_fp_ieee_underflow 0
		.amdhsa_exception_fp_ieee_inexact 0
		.amdhsa_exception_int_div_zero 0
	.end_amdhsa_kernel
	.section	.text._Z15block_id_kernelILj64ELj2ELj1EEvPj,"axG",@progbits,_Z15block_id_kernelILj64ELj2ELj1EEvPj,comdat
.Lfunc_end27:
	.size	_Z15block_id_kernelILj64ELj2ELj1EEvPj, .Lfunc_end27-_Z15block_id_kernelILj64ELj2ELj1EEvPj
                                        ; -- End function
	.set _Z15block_id_kernelILj64ELj2ELj1EEvPj.num_vgpr, 2
	.set _Z15block_id_kernelILj64ELj2ELj1EEvPj.num_agpr, 0
	.set _Z15block_id_kernelILj64ELj2ELj1EEvPj.numbered_sgpr, 8
	.set _Z15block_id_kernelILj64ELj2ELj1EEvPj.num_named_barrier, 0
	.set _Z15block_id_kernelILj64ELj2ELj1EEvPj.private_seg_size, 0
	.set _Z15block_id_kernelILj64ELj2ELj1EEvPj.uses_vcc, 1
	.set _Z15block_id_kernelILj64ELj2ELj1EEvPj.uses_flat_scratch, 0
	.set _Z15block_id_kernelILj64ELj2ELj1EEvPj.has_dyn_sized_stack, 0
	.set _Z15block_id_kernelILj64ELj2ELj1EEvPj.has_recursion, 0
	.set _Z15block_id_kernelILj64ELj2ELj1EEvPj.has_indirect_call, 0
	.section	.AMDGPU.csdata,"",@progbits
; Kernel info:
; codeLenInByte = 76
; TotalNumSgprs: 12
; NumVgprs: 2
; ScratchSize: 0
; MemoryBound: 0
; FloatMode: 240
; IeeeMode: 1
; LDSByteSize: 0 bytes/workgroup (compile time only)
; SGPRBlocks: 1
; VGPRBlocks: 0
; NumSGPRsForWavesPerEU: 12
; NumVGPRsForWavesPerEU: 2
; Occupancy: 10
; WaveLimiterHint : 0
; COMPUTE_PGM_RSRC2:SCRATCH_EN: 0
; COMPUTE_PGM_RSRC2:USER_SGPR: 6
; COMPUTE_PGM_RSRC2:TRAP_HANDLER: 0
; COMPUTE_PGM_RSRC2:TGID_X_EN: 1
; COMPUTE_PGM_RSRC2:TGID_Y_EN: 1
; COMPUTE_PGM_RSRC2:TGID_Z_EN: 0
; COMPUTE_PGM_RSRC2:TIDIG_COMP_CNT: 0
	.section	.text._Z15block_id_kernelILj32ELj2ELj1EEvPj,"axG",@progbits,_Z15block_id_kernelILj32ELj2ELj1EEvPj,comdat
	.protected	_Z15block_id_kernelILj32ELj2ELj1EEvPj ; -- Begin function _Z15block_id_kernelILj32ELj2ELj1EEvPj
	.globl	_Z15block_id_kernelILj32ELj2ELj1EEvPj
	.p2align	8
	.type	_Z15block_id_kernelILj32ELj2ELj1EEvPj,@function
_Z15block_id_kernelILj32ELj2ELj1EEvPj:  ; @_Z15block_id_kernelILj32ELj2ELj1EEvPj
; %bb.0:
	s_mov_b32 s1, 0
	v_cmp_ne_u32_e32 vcc, 0, v0
	s_and_saveexec_b64 s[2:3], vcc
	s_cbranch_execz .LBB28_2
; %bb.1:
	s_load_dword s0, s[4:5], 0x8
	s_load_dwordx2 s[2:3], s[4:5], 0x0
	v_mov_b32_e32 v0, 0
	s_waitcnt lgkmcnt(0)
	s_mul_i32 s0, s0, s7
	s_add_i32 s0, s0, s6
	s_lshl_b64 s[4:5], s[0:1], 2
	s_add_u32 s2, s2, s4
	s_addc_u32 s3, s3, s5
	v_mov_b32_e32 v1, s0
	global_store_dword v0, v1, s[2:3]
.LBB28_2:
	s_endpgm
	.section	.rodata,"a",@progbits
	.p2align	6, 0x0
	.amdhsa_kernel _Z15block_id_kernelILj32ELj2ELj1EEvPj
		.amdhsa_group_segment_fixed_size 0
		.amdhsa_private_segment_fixed_size 0
		.amdhsa_kernarg_size 264
		.amdhsa_user_sgpr_count 6
		.amdhsa_user_sgpr_private_segment_buffer 1
		.amdhsa_user_sgpr_dispatch_ptr 0
		.amdhsa_user_sgpr_queue_ptr 0
		.amdhsa_user_sgpr_kernarg_segment_ptr 1
		.amdhsa_user_sgpr_dispatch_id 0
		.amdhsa_user_sgpr_flat_scratch_init 0
		.amdhsa_user_sgpr_private_segment_size 0
		.amdhsa_uses_dynamic_stack 0
		.amdhsa_system_sgpr_private_segment_wavefront_offset 0
		.amdhsa_system_sgpr_workgroup_id_x 1
		.amdhsa_system_sgpr_workgroup_id_y 1
		.amdhsa_system_sgpr_workgroup_id_z 0
		.amdhsa_system_sgpr_workgroup_info 0
		.amdhsa_system_vgpr_workitem_id 0
		.amdhsa_next_free_vgpr 2
		.amdhsa_next_free_sgpr 8
		.amdhsa_reserve_vcc 1
		.amdhsa_reserve_flat_scratch 0
		.amdhsa_float_round_mode_32 0
		.amdhsa_float_round_mode_16_64 0
		.amdhsa_float_denorm_mode_32 3
		.amdhsa_float_denorm_mode_16_64 3
		.amdhsa_dx10_clamp 1
		.amdhsa_ieee_mode 1
		.amdhsa_fp16_overflow 0
		.amdhsa_exception_fp_ieee_invalid_op 0
		.amdhsa_exception_fp_denorm_src 0
		.amdhsa_exception_fp_ieee_div_zero 0
		.amdhsa_exception_fp_ieee_overflow 0
		.amdhsa_exception_fp_ieee_underflow 0
		.amdhsa_exception_fp_ieee_inexact 0
		.amdhsa_exception_int_div_zero 0
	.end_amdhsa_kernel
	.section	.text._Z15block_id_kernelILj32ELj2ELj1EEvPj,"axG",@progbits,_Z15block_id_kernelILj32ELj2ELj1EEvPj,comdat
.Lfunc_end28:
	.size	_Z15block_id_kernelILj32ELj2ELj1EEvPj, .Lfunc_end28-_Z15block_id_kernelILj32ELj2ELj1EEvPj
                                        ; -- End function
	.set _Z15block_id_kernelILj32ELj2ELj1EEvPj.num_vgpr, 2
	.set _Z15block_id_kernelILj32ELj2ELj1EEvPj.num_agpr, 0
	.set _Z15block_id_kernelILj32ELj2ELj1EEvPj.numbered_sgpr, 8
	.set _Z15block_id_kernelILj32ELj2ELj1EEvPj.num_named_barrier, 0
	.set _Z15block_id_kernelILj32ELj2ELj1EEvPj.private_seg_size, 0
	.set _Z15block_id_kernelILj32ELj2ELj1EEvPj.uses_vcc, 1
	.set _Z15block_id_kernelILj32ELj2ELj1EEvPj.uses_flat_scratch, 0
	.set _Z15block_id_kernelILj32ELj2ELj1EEvPj.has_dyn_sized_stack, 0
	.set _Z15block_id_kernelILj32ELj2ELj1EEvPj.has_recursion, 0
	.set _Z15block_id_kernelILj32ELj2ELj1EEvPj.has_indirect_call, 0
	.section	.AMDGPU.csdata,"",@progbits
; Kernel info:
; codeLenInByte = 76
; TotalNumSgprs: 12
; NumVgprs: 2
; ScratchSize: 0
; MemoryBound: 0
; FloatMode: 240
; IeeeMode: 1
; LDSByteSize: 0 bytes/workgroup (compile time only)
; SGPRBlocks: 1
; VGPRBlocks: 0
; NumSGPRsForWavesPerEU: 12
; NumVGPRsForWavesPerEU: 2
; Occupancy: 10
; WaveLimiterHint : 0
; COMPUTE_PGM_RSRC2:SCRATCH_EN: 0
; COMPUTE_PGM_RSRC2:USER_SGPR: 6
; COMPUTE_PGM_RSRC2:TRAP_HANDLER: 0
; COMPUTE_PGM_RSRC2:TGID_X_EN: 1
; COMPUTE_PGM_RSRC2:TGID_Y_EN: 1
; COMPUTE_PGM_RSRC2:TGID_Z_EN: 0
; COMPUTE_PGM_RSRC2:TIDIG_COMP_CNT: 0
	.section	.text._Z15block_id_kernelILj16ELj2ELj1EEvPj,"axG",@progbits,_Z15block_id_kernelILj16ELj2ELj1EEvPj,comdat
	.protected	_Z15block_id_kernelILj16ELj2ELj1EEvPj ; -- Begin function _Z15block_id_kernelILj16ELj2ELj1EEvPj
	.globl	_Z15block_id_kernelILj16ELj2ELj1EEvPj
	.p2align	8
	.type	_Z15block_id_kernelILj16ELj2ELj1EEvPj,@function
_Z15block_id_kernelILj16ELj2ELj1EEvPj:  ; @_Z15block_id_kernelILj16ELj2ELj1EEvPj
; %bb.0:
	s_mov_b32 s1, 0
	v_cmp_ne_u32_e32 vcc, 0, v0
	s_and_saveexec_b64 s[2:3], vcc
	s_cbranch_execz .LBB29_2
; %bb.1:
	s_load_dword s0, s[4:5], 0x8
	s_load_dwordx2 s[2:3], s[4:5], 0x0
	v_mov_b32_e32 v0, 0
	s_waitcnt lgkmcnt(0)
	s_mul_i32 s0, s0, s7
	s_add_i32 s0, s0, s6
	s_lshl_b64 s[4:5], s[0:1], 2
	s_add_u32 s2, s2, s4
	s_addc_u32 s3, s3, s5
	v_mov_b32_e32 v1, s0
	global_store_dword v0, v1, s[2:3]
.LBB29_2:
	s_endpgm
	.section	.rodata,"a",@progbits
	.p2align	6, 0x0
	.amdhsa_kernel _Z15block_id_kernelILj16ELj2ELj1EEvPj
		.amdhsa_group_segment_fixed_size 0
		.amdhsa_private_segment_fixed_size 0
		.amdhsa_kernarg_size 264
		.amdhsa_user_sgpr_count 6
		.amdhsa_user_sgpr_private_segment_buffer 1
		.amdhsa_user_sgpr_dispatch_ptr 0
		.amdhsa_user_sgpr_queue_ptr 0
		.amdhsa_user_sgpr_kernarg_segment_ptr 1
		.amdhsa_user_sgpr_dispatch_id 0
		.amdhsa_user_sgpr_flat_scratch_init 0
		.amdhsa_user_sgpr_private_segment_size 0
		.amdhsa_uses_dynamic_stack 0
		.amdhsa_system_sgpr_private_segment_wavefront_offset 0
		.amdhsa_system_sgpr_workgroup_id_x 1
		.amdhsa_system_sgpr_workgroup_id_y 1
		.amdhsa_system_sgpr_workgroup_id_z 0
		.amdhsa_system_sgpr_workgroup_info 0
		.amdhsa_system_vgpr_workitem_id 0
		.amdhsa_next_free_vgpr 2
		.amdhsa_next_free_sgpr 8
		.amdhsa_reserve_vcc 1
		.amdhsa_reserve_flat_scratch 0
		.amdhsa_float_round_mode_32 0
		.amdhsa_float_round_mode_16_64 0
		.amdhsa_float_denorm_mode_32 3
		.amdhsa_float_denorm_mode_16_64 3
		.amdhsa_dx10_clamp 1
		.amdhsa_ieee_mode 1
		.amdhsa_fp16_overflow 0
		.amdhsa_exception_fp_ieee_invalid_op 0
		.amdhsa_exception_fp_denorm_src 0
		.amdhsa_exception_fp_ieee_div_zero 0
		.amdhsa_exception_fp_ieee_overflow 0
		.amdhsa_exception_fp_ieee_underflow 0
		.amdhsa_exception_fp_ieee_inexact 0
		.amdhsa_exception_int_div_zero 0
	.end_amdhsa_kernel
	.section	.text._Z15block_id_kernelILj16ELj2ELj1EEvPj,"axG",@progbits,_Z15block_id_kernelILj16ELj2ELj1EEvPj,comdat
.Lfunc_end29:
	.size	_Z15block_id_kernelILj16ELj2ELj1EEvPj, .Lfunc_end29-_Z15block_id_kernelILj16ELj2ELj1EEvPj
                                        ; -- End function
	.set _Z15block_id_kernelILj16ELj2ELj1EEvPj.num_vgpr, 2
	.set _Z15block_id_kernelILj16ELj2ELj1EEvPj.num_agpr, 0
	.set _Z15block_id_kernelILj16ELj2ELj1EEvPj.numbered_sgpr, 8
	.set _Z15block_id_kernelILj16ELj2ELj1EEvPj.num_named_barrier, 0
	.set _Z15block_id_kernelILj16ELj2ELj1EEvPj.private_seg_size, 0
	.set _Z15block_id_kernelILj16ELj2ELj1EEvPj.uses_vcc, 1
	.set _Z15block_id_kernelILj16ELj2ELj1EEvPj.uses_flat_scratch, 0
	.set _Z15block_id_kernelILj16ELj2ELj1EEvPj.has_dyn_sized_stack, 0
	.set _Z15block_id_kernelILj16ELj2ELj1EEvPj.has_recursion, 0
	.set _Z15block_id_kernelILj16ELj2ELj1EEvPj.has_indirect_call, 0
	.section	.AMDGPU.csdata,"",@progbits
; Kernel info:
; codeLenInByte = 76
; TotalNumSgprs: 12
; NumVgprs: 2
; ScratchSize: 0
; MemoryBound: 0
; FloatMode: 240
; IeeeMode: 1
; LDSByteSize: 0 bytes/workgroup (compile time only)
; SGPRBlocks: 1
; VGPRBlocks: 0
; NumSGPRsForWavesPerEU: 12
; NumVGPRsForWavesPerEU: 2
; Occupancy: 10
; WaveLimiterHint : 0
; COMPUTE_PGM_RSRC2:SCRATCH_EN: 0
; COMPUTE_PGM_RSRC2:USER_SGPR: 6
; COMPUTE_PGM_RSRC2:TRAP_HANDLER: 0
; COMPUTE_PGM_RSRC2:TGID_X_EN: 1
; COMPUTE_PGM_RSRC2:TGID_Y_EN: 1
; COMPUTE_PGM_RSRC2:TGID_Z_EN: 0
; COMPUTE_PGM_RSRC2:TIDIG_COMP_CNT: 0
	.section	.text._Z15block_id_kernelILj1024ELj1ELj1EEvPj,"axG",@progbits,_Z15block_id_kernelILj1024ELj1ELj1EEvPj,comdat
	.protected	_Z15block_id_kernelILj1024ELj1ELj1EEvPj ; -- Begin function _Z15block_id_kernelILj1024ELj1ELj1EEvPj
	.globl	_Z15block_id_kernelILj1024ELj1ELj1EEvPj
	.p2align	8
	.type	_Z15block_id_kernelILj1024ELj1ELj1EEvPj,@function
_Z15block_id_kernelILj1024ELj1ELj1EEvPj: ; @_Z15block_id_kernelILj1024ELj1ELj1EEvPj
; %bb.0:
	s_mov_b32 s7, 0
	v_cmp_ne_u32_e32 vcc, 0, v0
	s_and_saveexec_b64 s[0:1], vcc
	s_cbranch_execz .LBB30_2
; %bb.1:
	s_load_dwordx2 s[0:1], s[4:5], 0x0
	s_lshl_b64 s[2:3], s[6:7], 2
	v_mov_b32_e32 v0, 0
	v_mov_b32_e32 v1, s6
	s_waitcnt lgkmcnt(0)
	s_add_u32 s0, s0, s2
	s_addc_u32 s1, s1, s3
	global_store_dword v0, v1, s[0:1]
.LBB30_2:
	s_endpgm
	.section	.rodata,"a",@progbits
	.p2align	6, 0x0
	.amdhsa_kernel _Z15block_id_kernelILj1024ELj1ELj1EEvPj
		.amdhsa_group_segment_fixed_size 0
		.amdhsa_private_segment_fixed_size 0
		.amdhsa_kernarg_size 8
		.amdhsa_user_sgpr_count 6
		.amdhsa_user_sgpr_private_segment_buffer 1
		.amdhsa_user_sgpr_dispatch_ptr 0
		.amdhsa_user_sgpr_queue_ptr 0
		.amdhsa_user_sgpr_kernarg_segment_ptr 1
		.amdhsa_user_sgpr_dispatch_id 0
		.amdhsa_user_sgpr_flat_scratch_init 0
		.amdhsa_user_sgpr_private_segment_size 0
		.amdhsa_uses_dynamic_stack 0
		.amdhsa_system_sgpr_private_segment_wavefront_offset 0
		.amdhsa_system_sgpr_workgroup_id_x 1
		.amdhsa_system_sgpr_workgroup_id_y 0
		.amdhsa_system_sgpr_workgroup_id_z 0
		.amdhsa_system_sgpr_workgroup_info 0
		.amdhsa_system_vgpr_workitem_id 0
		.amdhsa_next_free_vgpr 2
		.amdhsa_next_free_sgpr 8
		.amdhsa_reserve_vcc 1
		.amdhsa_reserve_flat_scratch 0
		.amdhsa_float_round_mode_32 0
		.amdhsa_float_round_mode_16_64 0
		.amdhsa_float_denorm_mode_32 3
		.amdhsa_float_denorm_mode_16_64 3
		.amdhsa_dx10_clamp 1
		.amdhsa_ieee_mode 1
		.amdhsa_fp16_overflow 0
		.amdhsa_exception_fp_ieee_invalid_op 0
		.amdhsa_exception_fp_denorm_src 0
		.amdhsa_exception_fp_ieee_div_zero 0
		.amdhsa_exception_fp_ieee_overflow 0
		.amdhsa_exception_fp_ieee_underflow 0
		.amdhsa_exception_fp_ieee_inexact 0
		.amdhsa_exception_int_div_zero 0
	.end_amdhsa_kernel
	.section	.text._Z15block_id_kernelILj1024ELj1ELj1EEvPj,"axG",@progbits,_Z15block_id_kernelILj1024ELj1ELj1EEvPj,comdat
.Lfunc_end30:
	.size	_Z15block_id_kernelILj1024ELj1ELj1EEvPj, .Lfunc_end30-_Z15block_id_kernelILj1024ELj1ELj1EEvPj
                                        ; -- End function
	.set _Z15block_id_kernelILj1024ELj1ELj1EEvPj.num_vgpr, 2
	.set _Z15block_id_kernelILj1024ELj1ELj1EEvPj.num_agpr, 0
	.set _Z15block_id_kernelILj1024ELj1ELj1EEvPj.numbered_sgpr, 8
	.set _Z15block_id_kernelILj1024ELj1ELj1EEvPj.num_named_barrier, 0
	.set _Z15block_id_kernelILj1024ELj1ELj1EEvPj.private_seg_size, 0
	.set _Z15block_id_kernelILj1024ELj1ELj1EEvPj.uses_vcc, 1
	.set _Z15block_id_kernelILj1024ELj1ELj1EEvPj.uses_flat_scratch, 0
	.set _Z15block_id_kernelILj1024ELj1ELj1EEvPj.has_dyn_sized_stack, 0
	.set _Z15block_id_kernelILj1024ELj1ELj1EEvPj.has_recursion, 0
	.set _Z15block_id_kernelILj1024ELj1ELj1EEvPj.has_indirect_call, 0
	.section	.AMDGPU.csdata,"",@progbits
; Kernel info:
; codeLenInByte = 60
; TotalNumSgprs: 12
; NumVgprs: 2
; ScratchSize: 0
; MemoryBound: 0
; FloatMode: 240
; IeeeMode: 1
; LDSByteSize: 0 bytes/workgroup (compile time only)
; SGPRBlocks: 1
; VGPRBlocks: 0
; NumSGPRsForWavesPerEU: 12
; NumVGPRsForWavesPerEU: 2
; Occupancy: 10
; WaveLimiterHint : 0
; COMPUTE_PGM_RSRC2:SCRATCH_EN: 0
; COMPUTE_PGM_RSRC2:USER_SGPR: 6
; COMPUTE_PGM_RSRC2:TRAP_HANDLER: 0
; COMPUTE_PGM_RSRC2:TGID_X_EN: 1
; COMPUTE_PGM_RSRC2:TGID_Y_EN: 0
; COMPUTE_PGM_RSRC2:TGID_Z_EN: 0
; COMPUTE_PGM_RSRC2:TIDIG_COMP_CNT: 0
	.section	.text._Z15block_id_kernelILj512ELj1ELj1EEvPj,"axG",@progbits,_Z15block_id_kernelILj512ELj1ELj1EEvPj,comdat
	.protected	_Z15block_id_kernelILj512ELj1ELj1EEvPj ; -- Begin function _Z15block_id_kernelILj512ELj1ELj1EEvPj
	.globl	_Z15block_id_kernelILj512ELj1ELj1EEvPj
	.p2align	8
	.type	_Z15block_id_kernelILj512ELj1ELj1EEvPj,@function
_Z15block_id_kernelILj512ELj1ELj1EEvPj: ; @_Z15block_id_kernelILj512ELj1ELj1EEvPj
; %bb.0:
	s_mov_b32 s7, 0
	v_cmp_ne_u32_e32 vcc, 0, v0
	s_and_saveexec_b64 s[0:1], vcc
	s_cbranch_execz .LBB31_2
; %bb.1:
	s_load_dwordx2 s[0:1], s[4:5], 0x0
	s_lshl_b64 s[2:3], s[6:7], 2
	v_mov_b32_e32 v0, 0
	v_mov_b32_e32 v1, s6
	s_waitcnt lgkmcnt(0)
	s_add_u32 s0, s0, s2
	s_addc_u32 s1, s1, s3
	global_store_dword v0, v1, s[0:1]
.LBB31_2:
	s_endpgm
	.section	.rodata,"a",@progbits
	.p2align	6, 0x0
	.amdhsa_kernel _Z15block_id_kernelILj512ELj1ELj1EEvPj
		.amdhsa_group_segment_fixed_size 0
		.amdhsa_private_segment_fixed_size 0
		.amdhsa_kernarg_size 8
		.amdhsa_user_sgpr_count 6
		.amdhsa_user_sgpr_private_segment_buffer 1
		.amdhsa_user_sgpr_dispatch_ptr 0
		.amdhsa_user_sgpr_queue_ptr 0
		.amdhsa_user_sgpr_kernarg_segment_ptr 1
		.amdhsa_user_sgpr_dispatch_id 0
		.amdhsa_user_sgpr_flat_scratch_init 0
		.amdhsa_user_sgpr_private_segment_size 0
		.amdhsa_uses_dynamic_stack 0
		.amdhsa_system_sgpr_private_segment_wavefront_offset 0
		.amdhsa_system_sgpr_workgroup_id_x 1
		.amdhsa_system_sgpr_workgroup_id_y 0
		.amdhsa_system_sgpr_workgroup_id_z 0
		.amdhsa_system_sgpr_workgroup_info 0
		.amdhsa_system_vgpr_workitem_id 0
		.amdhsa_next_free_vgpr 2
		.amdhsa_next_free_sgpr 8
		.amdhsa_reserve_vcc 1
		.amdhsa_reserve_flat_scratch 0
		.amdhsa_float_round_mode_32 0
		.amdhsa_float_round_mode_16_64 0
		.amdhsa_float_denorm_mode_32 3
		.amdhsa_float_denorm_mode_16_64 3
		.amdhsa_dx10_clamp 1
		.amdhsa_ieee_mode 1
		.amdhsa_fp16_overflow 0
		.amdhsa_exception_fp_ieee_invalid_op 0
		.amdhsa_exception_fp_denorm_src 0
		.amdhsa_exception_fp_ieee_div_zero 0
		.amdhsa_exception_fp_ieee_overflow 0
		.amdhsa_exception_fp_ieee_underflow 0
		.amdhsa_exception_fp_ieee_inexact 0
		.amdhsa_exception_int_div_zero 0
	.end_amdhsa_kernel
	.section	.text._Z15block_id_kernelILj512ELj1ELj1EEvPj,"axG",@progbits,_Z15block_id_kernelILj512ELj1ELj1EEvPj,comdat
.Lfunc_end31:
	.size	_Z15block_id_kernelILj512ELj1ELj1EEvPj, .Lfunc_end31-_Z15block_id_kernelILj512ELj1ELj1EEvPj
                                        ; -- End function
	.set _Z15block_id_kernelILj512ELj1ELj1EEvPj.num_vgpr, 2
	.set _Z15block_id_kernelILj512ELj1ELj1EEvPj.num_agpr, 0
	.set _Z15block_id_kernelILj512ELj1ELj1EEvPj.numbered_sgpr, 8
	.set _Z15block_id_kernelILj512ELj1ELj1EEvPj.num_named_barrier, 0
	.set _Z15block_id_kernelILj512ELj1ELj1EEvPj.private_seg_size, 0
	.set _Z15block_id_kernelILj512ELj1ELj1EEvPj.uses_vcc, 1
	.set _Z15block_id_kernelILj512ELj1ELj1EEvPj.uses_flat_scratch, 0
	.set _Z15block_id_kernelILj512ELj1ELj1EEvPj.has_dyn_sized_stack, 0
	.set _Z15block_id_kernelILj512ELj1ELj1EEvPj.has_recursion, 0
	.set _Z15block_id_kernelILj512ELj1ELj1EEvPj.has_indirect_call, 0
	.section	.AMDGPU.csdata,"",@progbits
; Kernel info:
; codeLenInByte = 60
; TotalNumSgprs: 12
; NumVgprs: 2
; ScratchSize: 0
; MemoryBound: 0
; FloatMode: 240
; IeeeMode: 1
; LDSByteSize: 0 bytes/workgroup (compile time only)
; SGPRBlocks: 1
; VGPRBlocks: 0
; NumSGPRsForWavesPerEU: 12
; NumVGPRsForWavesPerEU: 2
; Occupancy: 10
; WaveLimiterHint : 0
; COMPUTE_PGM_RSRC2:SCRATCH_EN: 0
; COMPUTE_PGM_RSRC2:USER_SGPR: 6
; COMPUTE_PGM_RSRC2:TRAP_HANDLER: 0
; COMPUTE_PGM_RSRC2:TGID_X_EN: 1
; COMPUTE_PGM_RSRC2:TGID_Y_EN: 0
; COMPUTE_PGM_RSRC2:TGID_Z_EN: 0
; COMPUTE_PGM_RSRC2:TIDIG_COMP_CNT: 0
	.section	.text._Z15block_id_kernelILj256ELj1ELj1EEvPj,"axG",@progbits,_Z15block_id_kernelILj256ELj1ELj1EEvPj,comdat
	.protected	_Z15block_id_kernelILj256ELj1ELj1EEvPj ; -- Begin function _Z15block_id_kernelILj256ELj1ELj1EEvPj
	.globl	_Z15block_id_kernelILj256ELj1ELj1EEvPj
	.p2align	8
	.type	_Z15block_id_kernelILj256ELj1ELj1EEvPj,@function
_Z15block_id_kernelILj256ELj1ELj1EEvPj: ; @_Z15block_id_kernelILj256ELj1ELj1EEvPj
; %bb.0:
	s_mov_b32 s7, 0
	v_cmp_ne_u32_e32 vcc, 0, v0
	s_and_saveexec_b64 s[0:1], vcc
	s_cbranch_execz .LBB32_2
; %bb.1:
	s_load_dwordx2 s[0:1], s[4:5], 0x0
	s_lshl_b64 s[2:3], s[6:7], 2
	v_mov_b32_e32 v0, 0
	v_mov_b32_e32 v1, s6
	s_waitcnt lgkmcnt(0)
	s_add_u32 s0, s0, s2
	s_addc_u32 s1, s1, s3
	global_store_dword v0, v1, s[0:1]
.LBB32_2:
	s_endpgm
	.section	.rodata,"a",@progbits
	.p2align	6, 0x0
	.amdhsa_kernel _Z15block_id_kernelILj256ELj1ELj1EEvPj
		.amdhsa_group_segment_fixed_size 0
		.amdhsa_private_segment_fixed_size 0
		.amdhsa_kernarg_size 8
		.amdhsa_user_sgpr_count 6
		.amdhsa_user_sgpr_private_segment_buffer 1
		.amdhsa_user_sgpr_dispatch_ptr 0
		.amdhsa_user_sgpr_queue_ptr 0
		.amdhsa_user_sgpr_kernarg_segment_ptr 1
		.amdhsa_user_sgpr_dispatch_id 0
		.amdhsa_user_sgpr_flat_scratch_init 0
		.amdhsa_user_sgpr_private_segment_size 0
		.amdhsa_uses_dynamic_stack 0
		.amdhsa_system_sgpr_private_segment_wavefront_offset 0
		.amdhsa_system_sgpr_workgroup_id_x 1
		.amdhsa_system_sgpr_workgroup_id_y 0
		.amdhsa_system_sgpr_workgroup_id_z 0
		.amdhsa_system_sgpr_workgroup_info 0
		.amdhsa_system_vgpr_workitem_id 0
		.amdhsa_next_free_vgpr 2
		.amdhsa_next_free_sgpr 8
		.amdhsa_reserve_vcc 1
		.amdhsa_reserve_flat_scratch 0
		.amdhsa_float_round_mode_32 0
		.amdhsa_float_round_mode_16_64 0
		.amdhsa_float_denorm_mode_32 3
		.amdhsa_float_denorm_mode_16_64 3
		.amdhsa_dx10_clamp 1
		.amdhsa_ieee_mode 1
		.amdhsa_fp16_overflow 0
		.amdhsa_exception_fp_ieee_invalid_op 0
		.amdhsa_exception_fp_denorm_src 0
		.amdhsa_exception_fp_ieee_div_zero 0
		.amdhsa_exception_fp_ieee_overflow 0
		.amdhsa_exception_fp_ieee_underflow 0
		.amdhsa_exception_fp_ieee_inexact 0
		.amdhsa_exception_int_div_zero 0
	.end_amdhsa_kernel
	.section	.text._Z15block_id_kernelILj256ELj1ELj1EEvPj,"axG",@progbits,_Z15block_id_kernelILj256ELj1ELj1EEvPj,comdat
.Lfunc_end32:
	.size	_Z15block_id_kernelILj256ELj1ELj1EEvPj, .Lfunc_end32-_Z15block_id_kernelILj256ELj1ELj1EEvPj
                                        ; -- End function
	.set _Z15block_id_kernelILj256ELj1ELj1EEvPj.num_vgpr, 2
	.set _Z15block_id_kernelILj256ELj1ELj1EEvPj.num_agpr, 0
	.set _Z15block_id_kernelILj256ELj1ELj1EEvPj.numbered_sgpr, 8
	.set _Z15block_id_kernelILj256ELj1ELj1EEvPj.num_named_barrier, 0
	.set _Z15block_id_kernelILj256ELj1ELj1EEvPj.private_seg_size, 0
	.set _Z15block_id_kernelILj256ELj1ELj1EEvPj.uses_vcc, 1
	.set _Z15block_id_kernelILj256ELj1ELj1EEvPj.uses_flat_scratch, 0
	.set _Z15block_id_kernelILj256ELj1ELj1EEvPj.has_dyn_sized_stack, 0
	.set _Z15block_id_kernelILj256ELj1ELj1EEvPj.has_recursion, 0
	.set _Z15block_id_kernelILj256ELj1ELj1EEvPj.has_indirect_call, 0
	.section	.AMDGPU.csdata,"",@progbits
; Kernel info:
; codeLenInByte = 60
; TotalNumSgprs: 12
; NumVgprs: 2
; ScratchSize: 0
; MemoryBound: 0
; FloatMode: 240
; IeeeMode: 1
; LDSByteSize: 0 bytes/workgroup (compile time only)
; SGPRBlocks: 1
; VGPRBlocks: 0
; NumSGPRsForWavesPerEU: 12
; NumVGPRsForWavesPerEU: 2
; Occupancy: 10
; WaveLimiterHint : 0
; COMPUTE_PGM_RSRC2:SCRATCH_EN: 0
; COMPUTE_PGM_RSRC2:USER_SGPR: 6
; COMPUTE_PGM_RSRC2:TRAP_HANDLER: 0
; COMPUTE_PGM_RSRC2:TGID_X_EN: 1
; COMPUTE_PGM_RSRC2:TGID_Y_EN: 0
; COMPUTE_PGM_RSRC2:TGID_Z_EN: 0
; COMPUTE_PGM_RSRC2:TIDIG_COMP_CNT: 0
	.section	.text._Z15block_id_kernelILj128ELj1ELj1EEvPj,"axG",@progbits,_Z15block_id_kernelILj128ELj1ELj1EEvPj,comdat
	.protected	_Z15block_id_kernelILj128ELj1ELj1EEvPj ; -- Begin function _Z15block_id_kernelILj128ELj1ELj1EEvPj
	.globl	_Z15block_id_kernelILj128ELj1ELj1EEvPj
	.p2align	8
	.type	_Z15block_id_kernelILj128ELj1ELj1EEvPj,@function
_Z15block_id_kernelILj128ELj1ELj1EEvPj: ; @_Z15block_id_kernelILj128ELj1ELj1EEvPj
; %bb.0:
	s_mov_b32 s7, 0
	v_cmp_ne_u32_e32 vcc, 0, v0
	s_and_saveexec_b64 s[0:1], vcc
	s_cbranch_execz .LBB33_2
; %bb.1:
	s_load_dwordx2 s[0:1], s[4:5], 0x0
	s_lshl_b64 s[2:3], s[6:7], 2
	v_mov_b32_e32 v0, 0
	v_mov_b32_e32 v1, s6
	s_waitcnt lgkmcnt(0)
	s_add_u32 s0, s0, s2
	s_addc_u32 s1, s1, s3
	global_store_dword v0, v1, s[0:1]
.LBB33_2:
	s_endpgm
	.section	.rodata,"a",@progbits
	.p2align	6, 0x0
	.amdhsa_kernel _Z15block_id_kernelILj128ELj1ELj1EEvPj
		.amdhsa_group_segment_fixed_size 0
		.amdhsa_private_segment_fixed_size 0
		.amdhsa_kernarg_size 8
		.amdhsa_user_sgpr_count 6
		.amdhsa_user_sgpr_private_segment_buffer 1
		.amdhsa_user_sgpr_dispatch_ptr 0
		.amdhsa_user_sgpr_queue_ptr 0
		.amdhsa_user_sgpr_kernarg_segment_ptr 1
		.amdhsa_user_sgpr_dispatch_id 0
		.amdhsa_user_sgpr_flat_scratch_init 0
		.amdhsa_user_sgpr_private_segment_size 0
		.amdhsa_uses_dynamic_stack 0
		.amdhsa_system_sgpr_private_segment_wavefront_offset 0
		.amdhsa_system_sgpr_workgroup_id_x 1
		.amdhsa_system_sgpr_workgroup_id_y 0
		.amdhsa_system_sgpr_workgroup_id_z 0
		.amdhsa_system_sgpr_workgroup_info 0
		.amdhsa_system_vgpr_workitem_id 0
		.amdhsa_next_free_vgpr 2
		.amdhsa_next_free_sgpr 8
		.amdhsa_reserve_vcc 1
		.amdhsa_reserve_flat_scratch 0
		.amdhsa_float_round_mode_32 0
		.amdhsa_float_round_mode_16_64 0
		.amdhsa_float_denorm_mode_32 3
		.amdhsa_float_denorm_mode_16_64 3
		.amdhsa_dx10_clamp 1
		.amdhsa_ieee_mode 1
		.amdhsa_fp16_overflow 0
		.amdhsa_exception_fp_ieee_invalid_op 0
		.amdhsa_exception_fp_denorm_src 0
		.amdhsa_exception_fp_ieee_div_zero 0
		.amdhsa_exception_fp_ieee_overflow 0
		.amdhsa_exception_fp_ieee_underflow 0
		.amdhsa_exception_fp_ieee_inexact 0
		.amdhsa_exception_int_div_zero 0
	.end_amdhsa_kernel
	.section	.text._Z15block_id_kernelILj128ELj1ELj1EEvPj,"axG",@progbits,_Z15block_id_kernelILj128ELj1ELj1EEvPj,comdat
.Lfunc_end33:
	.size	_Z15block_id_kernelILj128ELj1ELj1EEvPj, .Lfunc_end33-_Z15block_id_kernelILj128ELj1ELj1EEvPj
                                        ; -- End function
	.set _Z15block_id_kernelILj128ELj1ELj1EEvPj.num_vgpr, 2
	.set _Z15block_id_kernelILj128ELj1ELj1EEvPj.num_agpr, 0
	.set _Z15block_id_kernelILj128ELj1ELj1EEvPj.numbered_sgpr, 8
	.set _Z15block_id_kernelILj128ELj1ELj1EEvPj.num_named_barrier, 0
	.set _Z15block_id_kernelILj128ELj1ELj1EEvPj.private_seg_size, 0
	.set _Z15block_id_kernelILj128ELj1ELj1EEvPj.uses_vcc, 1
	.set _Z15block_id_kernelILj128ELj1ELj1EEvPj.uses_flat_scratch, 0
	.set _Z15block_id_kernelILj128ELj1ELj1EEvPj.has_dyn_sized_stack, 0
	.set _Z15block_id_kernelILj128ELj1ELj1EEvPj.has_recursion, 0
	.set _Z15block_id_kernelILj128ELj1ELj1EEvPj.has_indirect_call, 0
	.section	.AMDGPU.csdata,"",@progbits
; Kernel info:
; codeLenInByte = 60
; TotalNumSgprs: 12
; NumVgprs: 2
; ScratchSize: 0
; MemoryBound: 0
; FloatMode: 240
; IeeeMode: 1
; LDSByteSize: 0 bytes/workgroup (compile time only)
; SGPRBlocks: 1
; VGPRBlocks: 0
; NumSGPRsForWavesPerEU: 12
; NumVGPRsForWavesPerEU: 2
; Occupancy: 10
; WaveLimiterHint : 0
; COMPUTE_PGM_RSRC2:SCRATCH_EN: 0
; COMPUTE_PGM_RSRC2:USER_SGPR: 6
; COMPUTE_PGM_RSRC2:TRAP_HANDLER: 0
; COMPUTE_PGM_RSRC2:TGID_X_EN: 1
; COMPUTE_PGM_RSRC2:TGID_Y_EN: 0
; COMPUTE_PGM_RSRC2:TGID_Z_EN: 0
; COMPUTE_PGM_RSRC2:TIDIG_COMP_CNT: 0
	.section	.text._Z15block_id_kernelILj64ELj1ELj1EEvPj,"axG",@progbits,_Z15block_id_kernelILj64ELj1ELj1EEvPj,comdat
	.protected	_Z15block_id_kernelILj64ELj1ELj1EEvPj ; -- Begin function _Z15block_id_kernelILj64ELj1ELj1EEvPj
	.globl	_Z15block_id_kernelILj64ELj1ELj1EEvPj
	.p2align	8
	.type	_Z15block_id_kernelILj64ELj1ELj1EEvPj,@function
_Z15block_id_kernelILj64ELj1ELj1EEvPj:  ; @_Z15block_id_kernelILj64ELj1ELj1EEvPj
; %bb.0:
	s_mov_b32 s7, 0
	v_cmp_ne_u32_e32 vcc, 0, v0
	s_and_saveexec_b64 s[0:1], vcc
	s_cbranch_execz .LBB34_2
; %bb.1:
	s_load_dwordx2 s[0:1], s[4:5], 0x0
	s_lshl_b64 s[2:3], s[6:7], 2
	v_mov_b32_e32 v0, 0
	v_mov_b32_e32 v1, s6
	s_waitcnt lgkmcnt(0)
	s_add_u32 s0, s0, s2
	s_addc_u32 s1, s1, s3
	global_store_dword v0, v1, s[0:1]
.LBB34_2:
	s_endpgm
	.section	.rodata,"a",@progbits
	.p2align	6, 0x0
	.amdhsa_kernel _Z15block_id_kernelILj64ELj1ELj1EEvPj
		.amdhsa_group_segment_fixed_size 0
		.amdhsa_private_segment_fixed_size 0
		.amdhsa_kernarg_size 8
		.amdhsa_user_sgpr_count 6
		.amdhsa_user_sgpr_private_segment_buffer 1
		.amdhsa_user_sgpr_dispatch_ptr 0
		.amdhsa_user_sgpr_queue_ptr 0
		.amdhsa_user_sgpr_kernarg_segment_ptr 1
		.amdhsa_user_sgpr_dispatch_id 0
		.amdhsa_user_sgpr_flat_scratch_init 0
		.amdhsa_user_sgpr_private_segment_size 0
		.amdhsa_uses_dynamic_stack 0
		.amdhsa_system_sgpr_private_segment_wavefront_offset 0
		.amdhsa_system_sgpr_workgroup_id_x 1
		.amdhsa_system_sgpr_workgroup_id_y 0
		.amdhsa_system_sgpr_workgroup_id_z 0
		.amdhsa_system_sgpr_workgroup_info 0
		.amdhsa_system_vgpr_workitem_id 0
		.amdhsa_next_free_vgpr 2
		.amdhsa_next_free_sgpr 8
		.amdhsa_reserve_vcc 1
		.amdhsa_reserve_flat_scratch 0
		.amdhsa_float_round_mode_32 0
		.amdhsa_float_round_mode_16_64 0
		.amdhsa_float_denorm_mode_32 3
		.amdhsa_float_denorm_mode_16_64 3
		.amdhsa_dx10_clamp 1
		.amdhsa_ieee_mode 1
		.amdhsa_fp16_overflow 0
		.amdhsa_exception_fp_ieee_invalid_op 0
		.amdhsa_exception_fp_denorm_src 0
		.amdhsa_exception_fp_ieee_div_zero 0
		.amdhsa_exception_fp_ieee_overflow 0
		.amdhsa_exception_fp_ieee_underflow 0
		.amdhsa_exception_fp_ieee_inexact 0
		.amdhsa_exception_int_div_zero 0
	.end_amdhsa_kernel
	.section	.text._Z15block_id_kernelILj64ELj1ELj1EEvPj,"axG",@progbits,_Z15block_id_kernelILj64ELj1ELj1EEvPj,comdat
.Lfunc_end34:
	.size	_Z15block_id_kernelILj64ELj1ELj1EEvPj, .Lfunc_end34-_Z15block_id_kernelILj64ELj1ELj1EEvPj
                                        ; -- End function
	.set _Z15block_id_kernelILj64ELj1ELj1EEvPj.num_vgpr, 2
	.set _Z15block_id_kernelILj64ELj1ELj1EEvPj.num_agpr, 0
	.set _Z15block_id_kernelILj64ELj1ELj1EEvPj.numbered_sgpr, 8
	.set _Z15block_id_kernelILj64ELj1ELj1EEvPj.num_named_barrier, 0
	.set _Z15block_id_kernelILj64ELj1ELj1EEvPj.private_seg_size, 0
	.set _Z15block_id_kernelILj64ELj1ELj1EEvPj.uses_vcc, 1
	.set _Z15block_id_kernelILj64ELj1ELj1EEvPj.uses_flat_scratch, 0
	.set _Z15block_id_kernelILj64ELj1ELj1EEvPj.has_dyn_sized_stack, 0
	.set _Z15block_id_kernelILj64ELj1ELj1EEvPj.has_recursion, 0
	.set _Z15block_id_kernelILj64ELj1ELj1EEvPj.has_indirect_call, 0
	.section	.AMDGPU.csdata,"",@progbits
; Kernel info:
; codeLenInByte = 60
; TotalNumSgprs: 12
; NumVgprs: 2
; ScratchSize: 0
; MemoryBound: 0
; FloatMode: 240
; IeeeMode: 1
; LDSByteSize: 0 bytes/workgroup (compile time only)
; SGPRBlocks: 1
; VGPRBlocks: 0
; NumSGPRsForWavesPerEU: 12
; NumVGPRsForWavesPerEU: 2
; Occupancy: 10
; WaveLimiterHint : 0
; COMPUTE_PGM_RSRC2:SCRATCH_EN: 0
; COMPUTE_PGM_RSRC2:USER_SGPR: 6
; COMPUTE_PGM_RSRC2:TRAP_HANDLER: 0
; COMPUTE_PGM_RSRC2:TGID_X_EN: 1
; COMPUTE_PGM_RSRC2:TGID_Y_EN: 0
; COMPUTE_PGM_RSRC2:TGID_Z_EN: 0
; COMPUTE_PGM_RSRC2:TIDIG_COMP_CNT: 0
	.section	.text._Z15block_id_kernelILj32ELj1ELj1EEvPj,"axG",@progbits,_Z15block_id_kernelILj32ELj1ELj1EEvPj,comdat
	.protected	_Z15block_id_kernelILj32ELj1ELj1EEvPj ; -- Begin function _Z15block_id_kernelILj32ELj1ELj1EEvPj
	.globl	_Z15block_id_kernelILj32ELj1ELj1EEvPj
	.p2align	8
	.type	_Z15block_id_kernelILj32ELj1ELj1EEvPj,@function
_Z15block_id_kernelILj32ELj1ELj1EEvPj:  ; @_Z15block_id_kernelILj32ELj1ELj1EEvPj
; %bb.0:
	s_mov_b32 s7, 0
	v_cmp_ne_u32_e32 vcc, 0, v0
	s_and_saveexec_b64 s[0:1], vcc
	s_cbranch_execz .LBB35_2
; %bb.1:
	s_load_dwordx2 s[0:1], s[4:5], 0x0
	s_lshl_b64 s[2:3], s[6:7], 2
	v_mov_b32_e32 v0, 0
	v_mov_b32_e32 v1, s6
	s_waitcnt lgkmcnt(0)
	s_add_u32 s0, s0, s2
	s_addc_u32 s1, s1, s3
	global_store_dword v0, v1, s[0:1]
.LBB35_2:
	s_endpgm
	.section	.rodata,"a",@progbits
	.p2align	6, 0x0
	.amdhsa_kernel _Z15block_id_kernelILj32ELj1ELj1EEvPj
		.amdhsa_group_segment_fixed_size 0
		.amdhsa_private_segment_fixed_size 0
		.amdhsa_kernarg_size 8
		.amdhsa_user_sgpr_count 6
		.amdhsa_user_sgpr_private_segment_buffer 1
		.amdhsa_user_sgpr_dispatch_ptr 0
		.amdhsa_user_sgpr_queue_ptr 0
		.amdhsa_user_sgpr_kernarg_segment_ptr 1
		.amdhsa_user_sgpr_dispatch_id 0
		.amdhsa_user_sgpr_flat_scratch_init 0
		.amdhsa_user_sgpr_private_segment_size 0
		.amdhsa_uses_dynamic_stack 0
		.amdhsa_system_sgpr_private_segment_wavefront_offset 0
		.amdhsa_system_sgpr_workgroup_id_x 1
		.amdhsa_system_sgpr_workgroup_id_y 0
		.amdhsa_system_sgpr_workgroup_id_z 0
		.amdhsa_system_sgpr_workgroup_info 0
		.amdhsa_system_vgpr_workitem_id 0
		.amdhsa_next_free_vgpr 2
		.amdhsa_next_free_sgpr 8
		.amdhsa_reserve_vcc 1
		.amdhsa_reserve_flat_scratch 0
		.amdhsa_float_round_mode_32 0
		.amdhsa_float_round_mode_16_64 0
		.amdhsa_float_denorm_mode_32 3
		.amdhsa_float_denorm_mode_16_64 3
		.amdhsa_dx10_clamp 1
		.amdhsa_ieee_mode 1
		.amdhsa_fp16_overflow 0
		.amdhsa_exception_fp_ieee_invalid_op 0
		.amdhsa_exception_fp_denorm_src 0
		.amdhsa_exception_fp_ieee_div_zero 0
		.amdhsa_exception_fp_ieee_overflow 0
		.amdhsa_exception_fp_ieee_underflow 0
		.amdhsa_exception_fp_ieee_inexact 0
		.amdhsa_exception_int_div_zero 0
	.end_amdhsa_kernel
	.section	.text._Z15block_id_kernelILj32ELj1ELj1EEvPj,"axG",@progbits,_Z15block_id_kernelILj32ELj1ELj1EEvPj,comdat
.Lfunc_end35:
	.size	_Z15block_id_kernelILj32ELj1ELj1EEvPj, .Lfunc_end35-_Z15block_id_kernelILj32ELj1ELj1EEvPj
                                        ; -- End function
	.set _Z15block_id_kernelILj32ELj1ELj1EEvPj.num_vgpr, 2
	.set _Z15block_id_kernelILj32ELj1ELj1EEvPj.num_agpr, 0
	.set _Z15block_id_kernelILj32ELj1ELj1EEvPj.numbered_sgpr, 8
	.set _Z15block_id_kernelILj32ELj1ELj1EEvPj.num_named_barrier, 0
	.set _Z15block_id_kernelILj32ELj1ELj1EEvPj.private_seg_size, 0
	.set _Z15block_id_kernelILj32ELj1ELj1EEvPj.uses_vcc, 1
	.set _Z15block_id_kernelILj32ELj1ELj1EEvPj.uses_flat_scratch, 0
	.set _Z15block_id_kernelILj32ELj1ELj1EEvPj.has_dyn_sized_stack, 0
	.set _Z15block_id_kernelILj32ELj1ELj1EEvPj.has_recursion, 0
	.set _Z15block_id_kernelILj32ELj1ELj1EEvPj.has_indirect_call, 0
	.section	.AMDGPU.csdata,"",@progbits
; Kernel info:
; codeLenInByte = 60
; TotalNumSgprs: 12
; NumVgprs: 2
; ScratchSize: 0
; MemoryBound: 0
; FloatMode: 240
; IeeeMode: 1
; LDSByteSize: 0 bytes/workgroup (compile time only)
; SGPRBlocks: 1
; VGPRBlocks: 0
; NumSGPRsForWavesPerEU: 12
; NumVGPRsForWavesPerEU: 2
; Occupancy: 10
; WaveLimiterHint : 0
; COMPUTE_PGM_RSRC2:SCRATCH_EN: 0
; COMPUTE_PGM_RSRC2:USER_SGPR: 6
; COMPUTE_PGM_RSRC2:TRAP_HANDLER: 0
; COMPUTE_PGM_RSRC2:TGID_X_EN: 1
; COMPUTE_PGM_RSRC2:TGID_Y_EN: 0
; COMPUTE_PGM_RSRC2:TGID_Z_EN: 0
; COMPUTE_PGM_RSRC2:TIDIG_COMP_CNT: 0
	.section	.AMDGPU.gpr_maximums,"",@progbits
	.set amdgpu.max_num_vgpr, 0
	.set amdgpu.max_num_agpr, 0
	.set amdgpu.max_num_sgpr, 0
	.section	.AMDGPU.csdata,"",@progbits
	.type	__hip_cuid_7f11e74ad3ca4ba4,@object ; @__hip_cuid_7f11e74ad3ca4ba4
	.section	.bss,"aw",@nobits
	.globl	__hip_cuid_7f11e74ad3ca4ba4
__hip_cuid_7f11e74ad3ca4ba4:
	.byte	0                               ; 0x0
	.size	__hip_cuid_7f11e74ad3ca4ba4, 1

	.ident	"AMD clang version 22.0.0git (https://github.com/RadeonOpenCompute/llvm-project roc-7.2.4 26084 f58b06dce1f9c15707c5f808fd002e18c2accf7e)"
	.section	".note.GNU-stack","",@progbits
	.addrsig
	.addrsig_sym __hip_cuid_7f11e74ad3ca4ba4
	.amdgpu_metadata
---
amdhsa.kernels:
  - .args:
      - .address_space:  global
        .offset:         0
        .size:           8
        .value_kind:     global_buffer
      - .offset:         8
        .size:           4
        .value_kind:     hidden_block_count_x
      - .offset:         12
        .size:           4
        .value_kind:     hidden_block_count_y
      - .offset:         16
        .size:           4
        .value_kind:     hidden_block_count_z
      - .offset:         20
        .size:           2
        .value_kind:     hidden_group_size_x
      - .offset:         22
        .size:           2
        .value_kind:     hidden_group_size_y
      - .offset:         24
        .size:           2
        .value_kind:     hidden_group_size_z
      - .offset:         26
        .size:           2
        .value_kind:     hidden_remainder_x
      - .offset:         28
        .size:           2
        .value_kind:     hidden_remainder_y
      - .offset:         30
        .size:           2
        .value_kind:     hidden_remainder_z
      - .offset:         48
        .size:           8
        .value_kind:     hidden_global_offset_x
      - .offset:         56
        .size:           8
        .value_kind:     hidden_global_offset_y
      - .offset:         64
        .size:           8
        .value_kind:     hidden_global_offset_z
      - .offset:         72
        .size:           2
        .value_kind:     hidden_grid_dims
    .group_segment_fixed_size: 0
    .kernarg_segment_align: 8
    .kernarg_segment_size: 264
    .language:       OpenCL C
    .language_version:
      - 2
      - 0
    .max_flat_workgroup_size: 1024
    .name:           _Z14flat_id_kernelILj256ELj2ELj2EEvPj
    .private_segment_fixed_size: 0
    .sgpr_count:     10
    .sgpr_spill_count: 0
    .symbol:         _Z14flat_id_kernelILj256ELj2ELj2EEvPj.kd
    .uniform_work_group_size: 1
    .uses_dynamic_stack: false
    .vgpr_count:     4
    .vgpr_spill_count: 0
    .wavefront_size: 64
  - .args:
      - .address_space:  global
        .offset:         0
        .size:           8
        .value_kind:     global_buffer
      - .offset:         8
        .size:           4
        .value_kind:     hidden_block_count_x
      - .offset:         12
        .size:           4
        .value_kind:     hidden_block_count_y
      - .offset:         16
        .size:           4
        .value_kind:     hidden_block_count_z
      - .offset:         20
        .size:           2
        .value_kind:     hidden_group_size_x
      - .offset:         22
        .size:           2
        .value_kind:     hidden_group_size_y
      - .offset:         24
        .size:           2
        .value_kind:     hidden_group_size_z
      - .offset:         26
        .size:           2
        .value_kind:     hidden_remainder_x
      - .offset:         28
        .size:           2
        .value_kind:     hidden_remainder_y
      - .offset:         30
        .size:           2
        .value_kind:     hidden_remainder_z
      - .offset:         48
        .size:           8
        .value_kind:     hidden_global_offset_x
      - .offset:         56
        .size:           8
        .value_kind:     hidden_global_offset_y
      - .offset:         64
        .size:           8
        .value_kind:     hidden_global_offset_z
      - .offset:         72
        .size:           2
        .value_kind:     hidden_grid_dims
    .group_segment_fixed_size: 0
    .kernarg_segment_align: 8
    .kernarg_segment_size: 264
    .language:       OpenCL C
    .language_version:
      - 2
      - 0
    .max_flat_workgroup_size: 1024
    .name:           _Z14flat_id_kernelILj128ELj2ELj2EEvPj
    .private_segment_fixed_size: 0
    .sgpr_count:     10
    .sgpr_spill_count: 0
    .symbol:         _Z14flat_id_kernelILj128ELj2ELj2EEvPj.kd
    .uniform_work_group_size: 1
    .uses_dynamic_stack: false
    .vgpr_count:     4
    .vgpr_spill_count: 0
    .wavefront_size: 64
  - .args:
      - .address_space:  global
        .offset:         0
        .size:           8
        .value_kind:     global_buffer
      - .offset:         8
        .size:           4
        .value_kind:     hidden_block_count_x
      - .offset:         12
        .size:           4
        .value_kind:     hidden_block_count_y
      - .offset:         16
        .size:           4
        .value_kind:     hidden_block_count_z
      - .offset:         20
        .size:           2
        .value_kind:     hidden_group_size_x
      - .offset:         22
        .size:           2
        .value_kind:     hidden_group_size_y
      - .offset:         24
        .size:           2
        .value_kind:     hidden_group_size_z
      - .offset:         26
        .size:           2
        .value_kind:     hidden_remainder_x
      - .offset:         28
        .size:           2
        .value_kind:     hidden_remainder_y
      - .offset:         30
        .size:           2
        .value_kind:     hidden_remainder_z
      - .offset:         48
        .size:           8
        .value_kind:     hidden_global_offset_x
      - .offset:         56
        .size:           8
        .value_kind:     hidden_global_offset_y
      - .offset:         64
        .size:           8
        .value_kind:     hidden_global_offset_z
      - .offset:         72
        .size:           2
        .value_kind:     hidden_grid_dims
    .group_segment_fixed_size: 0
    .kernarg_segment_align: 8
    .kernarg_segment_size: 264
    .language:       OpenCL C
    .language_version:
      - 2
      - 0
    .max_flat_workgroup_size: 1024
    .name:           _Z14flat_id_kernelILj64ELj2ELj2EEvPj
    .private_segment_fixed_size: 0
    .sgpr_count:     10
    .sgpr_spill_count: 0
    .symbol:         _Z14flat_id_kernelILj64ELj2ELj2EEvPj.kd
    .uniform_work_group_size: 1
    .uses_dynamic_stack: false
    .vgpr_count:     4
    .vgpr_spill_count: 0
    .wavefront_size: 64
  - .args:
      - .address_space:  global
        .offset:         0
        .size:           8
        .value_kind:     global_buffer
      - .offset:         8
        .size:           4
        .value_kind:     hidden_block_count_x
      - .offset:         12
        .size:           4
        .value_kind:     hidden_block_count_y
      - .offset:         16
        .size:           4
        .value_kind:     hidden_block_count_z
      - .offset:         20
        .size:           2
        .value_kind:     hidden_group_size_x
      - .offset:         22
        .size:           2
        .value_kind:     hidden_group_size_y
      - .offset:         24
        .size:           2
        .value_kind:     hidden_group_size_z
      - .offset:         26
        .size:           2
        .value_kind:     hidden_remainder_x
      - .offset:         28
        .size:           2
        .value_kind:     hidden_remainder_y
      - .offset:         30
        .size:           2
        .value_kind:     hidden_remainder_z
      - .offset:         48
        .size:           8
        .value_kind:     hidden_global_offset_x
      - .offset:         56
        .size:           8
        .value_kind:     hidden_global_offset_y
      - .offset:         64
        .size:           8
        .value_kind:     hidden_global_offset_z
      - .offset:         72
        .size:           2
        .value_kind:     hidden_grid_dims
    .group_segment_fixed_size: 0
    .kernarg_segment_align: 8
    .kernarg_segment_size: 264
    .language:       OpenCL C
    .language_version:
      - 2
      - 0
    .max_flat_workgroup_size: 1024
    .name:           _Z14flat_id_kernelILj32ELj2ELj2EEvPj
    .private_segment_fixed_size: 0
    .sgpr_count:     10
    .sgpr_spill_count: 0
    .symbol:         _Z14flat_id_kernelILj32ELj2ELj2EEvPj.kd
    .uniform_work_group_size: 1
    .uses_dynamic_stack: false
    .vgpr_count:     4
    .vgpr_spill_count: 0
    .wavefront_size: 64
  - .args:
      - .address_space:  global
        .offset:         0
        .size:           8
        .value_kind:     global_buffer
      - .offset:         8
        .size:           4
        .value_kind:     hidden_block_count_x
      - .offset:         12
        .size:           4
        .value_kind:     hidden_block_count_y
      - .offset:         16
        .size:           4
        .value_kind:     hidden_block_count_z
      - .offset:         20
        .size:           2
        .value_kind:     hidden_group_size_x
      - .offset:         22
        .size:           2
        .value_kind:     hidden_group_size_y
      - .offset:         24
        .size:           2
        .value_kind:     hidden_group_size_z
      - .offset:         26
        .size:           2
        .value_kind:     hidden_remainder_x
      - .offset:         28
        .size:           2
        .value_kind:     hidden_remainder_y
      - .offset:         30
        .size:           2
        .value_kind:     hidden_remainder_z
      - .offset:         48
        .size:           8
        .value_kind:     hidden_global_offset_x
      - .offset:         56
        .size:           8
        .value_kind:     hidden_global_offset_y
      - .offset:         64
        .size:           8
        .value_kind:     hidden_global_offset_z
      - .offset:         72
        .size:           2
        .value_kind:     hidden_grid_dims
    .group_segment_fixed_size: 0
    .kernarg_segment_align: 8
    .kernarg_segment_size: 264
    .language:       OpenCL C
    .language_version:
      - 2
      - 0
    .max_flat_workgroup_size: 1024
    .name:           _Z14flat_id_kernelILj16ELj2ELj2EEvPj
    .private_segment_fixed_size: 0
    .sgpr_count:     10
    .sgpr_spill_count: 0
    .symbol:         _Z14flat_id_kernelILj16ELj2ELj2EEvPj.kd
    .uniform_work_group_size: 1
    .uses_dynamic_stack: false
    .vgpr_count:     4
    .vgpr_spill_count: 0
    .wavefront_size: 64
  - .args:
      - .address_space:  global
        .offset:         0
        .size:           8
        .value_kind:     global_buffer
      - .offset:         8
        .size:           4
        .value_kind:     hidden_block_count_x
      - .offset:         12
        .size:           4
        .value_kind:     hidden_block_count_y
      - .offset:         16
        .size:           4
        .value_kind:     hidden_block_count_z
      - .offset:         20
        .size:           2
        .value_kind:     hidden_group_size_x
      - .offset:         22
        .size:           2
        .value_kind:     hidden_group_size_y
      - .offset:         24
        .size:           2
        .value_kind:     hidden_group_size_z
      - .offset:         26
        .size:           2
        .value_kind:     hidden_remainder_x
      - .offset:         28
        .size:           2
        .value_kind:     hidden_remainder_y
      - .offset:         30
        .size:           2
        .value_kind:     hidden_remainder_z
      - .offset:         48
        .size:           8
        .value_kind:     hidden_global_offset_x
      - .offset:         56
        .size:           8
        .value_kind:     hidden_global_offset_y
      - .offset:         64
        .size:           8
        .value_kind:     hidden_global_offset_z
      - .offset:         72
        .size:           2
        .value_kind:     hidden_grid_dims
    .group_segment_fixed_size: 0
    .kernarg_segment_align: 8
    .kernarg_segment_size: 264
    .language:       OpenCL C
    .language_version:
      - 2
      - 0
    .max_flat_workgroup_size: 1024
    .name:           _Z14flat_id_kernelILj8ELj2ELj2EEvPj
    .private_segment_fixed_size: 0
    .sgpr_count:     10
    .sgpr_spill_count: 0
    .symbol:         _Z14flat_id_kernelILj8ELj2ELj2EEvPj.kd
    .uniform_work_group_size: 1
    .uses_dynamic_stack: false
    .vgpr_count:     4
    .vgpr_spill_count: 0
    .wavefront_size: 64
  - .args:
      - .address_space:  global
        .offset:         0
        .size:           8
        .value_kind:     global_buffer
      - .offset:         8
        .size:           4
        .value_kind:     hidden_block_count_x
      - .offset:         12
        .size:           4
        .value_kind:     hidden_block_count_y
      - .offset:         16
        .size:           4
        .value_kind:     hidden_block_count_z
      - .offset:         20
        .size:           2
        .value_kind:     hidden_group_size_x
      - .offset:         22
        .size:           2
        .value_kind:     hidden_group_size_y
      - .offset:         24
        .size:           2
        .value_kind:     hidden_group_size_z
      - .offset:         26
        .size:           2
        .value_kind:     hidden_remainder_x
      - .offset:         28
        .size:           2
        .value_kind:     hidden_remainder_y
      - .offset:         30
        .size:           2
        .value_kind:     hidden_remainder_z
      - .offset:         48
        .size:           8
        .value_kind:     hidden_global_offset_x
      - .offset:         56
        .size:           8
        .value_kind:     hidden_global_offset_y
      - .offset:         64
        .size:           8
        .value_kind:     hidden_global_offset_z
      - .offset:         72
        .size:           2
        .value_kind:     hidden_grid_dims
    .group_segment_fixed_size: 0
    .kernarg_segment_align: 8
    .kernarg_segment_size: 264
    .language:       OpenCL C
    .language_version:
      - 2
      - 0
    .max_flat_workgroup_size: 1024
    .name:           _Z14flat_id_kernelILj512ELj2ELj1EEvPj
    .private_segment_fixed_size: 0
    .sgpr_count:     10
    .sgpr_spill_count: 0
    .symbol:         _Z14flat_id_kernelILj512ELj2ELj1EEvPj.kd
    .uniform_work_group_size: 1
    .uses_dynamic_stack: false
    .vgpr_count:     2
    .vgpr_spill_count: 0
    .wavefront_size: 64
  - .args:
      - .address_space:  global
        .offset:         0
        .size:           8
        .value_kind:     global_buffer
      - .offset:         8
        .size:           4
        .value_kind:     hidden_block_count_x
      - .offset:         12
        .size:           4
        .value_kind:     hidden_block_count_y
      - .offset:         16
        .size:           4
        .value_kind:     hidden_block_count_z
      - .offset:         20
        .size:           2
        .value_kind:     hidden_group_size_x
      - .offset:         22
        .size:           2
        .value_kind:     hidden_group_size_y
      - .offset:         24
        .size:           2
        .value_kind:     hidden_group_size_z
      - .offset:         26
        .size:           2
        .value_kind:     hidden_remainder_x
      - .offset:         28
        .size:           2
        .value_kind:     hidden_remainder_y
      - .offset:         30
        .size:           2
        .value_kind:     hidden_remainder_z
      - .offset:         48
        .size:           8
        .value_kind:     hidden_global_offset_x
      - .offset:         56
        .size:           8
        .value_kind:     hidden_global_offset_y
      - .offset:         64
        .size:           8
        .value_kind:     hidden_global_offset_z
      - .offset:         72
        .size:           2
        .value_kind:     hidden_grid_dims
    .group_segment_fixed_size: 0
    .kernarg_segment_align: 8
    .kernarg_segment_size: 264
    .language:       OpenCL C
    .language_version:
      - 2
      - 0
    .max_flat_workgroup_size: 1024
    .name:           _Z14flat_id_kernelILj256ELj2ELj1EEvPj
    .private_segment_fixed_size: 0
    .sgpr_count:     10
    .sgpr_spill_count: 0
    .symbol:         _Z14flat_id_kernelILj256ELj2ELj1EEvPj.kd
    .uniform_work_group_size: 1
    .uses_dynamic_stack: false
    .vgpr_count:     2
    .vgpr_spill_count: 0
    .wavefront_size: 64
  - .args:
      - .address_space:  global
        .offset:         0
        .size:           8
        .value_kind:     global_buffer
      - .offset:         8
        .size:           4
        .value_kind:     hidden_block_count_x
      - .offset:         12
        .size:           4
        .value_kind:     hidden_block_count_y
      - .offset:         16
        .size:           4
        .value_kind:     hidden_block_count_z
      - .offset:         20
        .size:           2
        .value_kind:     hidden_group_size_x
      - .offset:         22
        .size:           2
        .value_kind:     hidden_group_size_y
      - .offset:         24
        .size:           2
        .value_kind:     hidden_group_size_z
      - .offset:         26
        .size:           2
        .value_kind:     hidden_remainder_x
      - .offset:         28
        .size:           2
        .value_kind:     hidden_remainder_y
      - .offset:         30
        .size:           2
        .value_kind:     hidden_remainder_z
      - .offset:         48
        .size:           8
        .value_kind:     hidden_global_offset_x
      - .offset:         56
        .size:           8
        .value_kind:     hidden_global_offset_y
      - .offset:         64
        .size:           8
        .value_kind:     hidden_global_offset_z
      - .offset:         72
        .size:           2
        .value_kind:     hidden_grid_dims
    .group_segment_fixed_size: 0
    .kernarg_segment_align: 8
    .kernarg_segment_size: 264
    .language:       OpenCL C
    .language_version:
      - 2
      - 0
    .max_flat_workgroup_size: 1024
    .name:           _Z14flat_id_kernelILj128ELj2ELj1EEvPj
    .private_segment_fixed_size: 0
    .sgpr_count:     10
    .sgpr_spill_count: 0
    .symbol:         _Z14flat_id_kernelILj128ELj2ELj1EEvPj.kd
    .uniform_work_group_size: 1
    .uses_dynamic_stack: false
    .vgpr_count:     2
    .vgpr_spill_count: 0
    .wavefront_size: 64
  - .args:
      - .address_space:  global
        .offset:         0
        .size:           8
        .value_kind:     global_buffer
      - .offset:         8
        .size:           4
        .value_kind:     hidden_block_count_x
      - .offset:         12
        .size:           4
        .value_kind:     hidden_block_count_y
      - .offset:         16
        .size:           4
        .value_kind:     hidden_block_count_z
      - .offset:         20
        .size:           2
        .value_kind:     hidden_group_size_x
      - .offset:         22
        .size:           2
        .value_kind:     hidden_group_size_y
      - .offset:         24
        .size:           2
        .value_kind:     hidden_group_size_z
      - .offset:         26
        .size:           2
        .value_kind:     hidden_remainder_x
      - .offset:         28
        .size:           2
        .value_kind:     hidden_remainder_y
      - .offset:         30
        .size:           2
        .value_kind:     hidden_remainder_z
      - .offset:         48
        .size:           8
        .value_kind:     hidden_global_offset_x
      - .offset:         56
        .size:           8
        .value_kind:     hidden_global_offset_y
      - .offset:         64
        .size:           8
        .value_kind:     hidden_global_offset_z
      - .offset:         72
        .size:           2
        .value_kind:     hidden_grid_dims
    .group_segment_fixed_size: 0
    .kernarg_segment_align: 8
    .kernarg_segment_size: 264
    .language:       OpenCL C
    .language_version:
      - 2
      - 0
    .max_flat_workgroup_size: 1024
    .name:           _Z14flat_id_kernelILj64ELj2ELj1EEvPj
    .private_segment_fixed_size: 0
    .sgpr_count:     10
    .sgpr_spill_count: 0
    .symbol:         _Z14flat_id_kernelILj64ELj2ELj1EEvPj.kd
    .uniform_work_group_size: 1
    .uses_dynamic_stack: false
    .vgpr_count:     2
    .vgpr_spill_count: 0
    .wavefront_size: 64
  - .args:
      - .address_space:  global
        .offset:         0
        .size:           8
        .value_kind:     global_buffer
      - .offset:         8
        .size:           4
        .value_kind:     hidden_block_count_x
      - .offset:         12
        .size:           4
        .value_kind:     hidden_block_count_y
      - .offset:         16
        .size:           4
        .value_kind:     hidden_block_count_z
      - .offset:         20
        .size:           2
        .value_kind:     hidden_group_size_x
      - .offset:         22
        .size:           2
        .value_kind:     hidden_group_size_y
      - .offset:         24
        .size:           2
        .value_kind:     hidden_group_size_z
      - .offset:         26
        .size:           2
        .value_kind:     hidden_remainder_x
      - .offset:         28
        .size:           2
        .value_kind:     hidden_remainder_y
      - .offset:         30
        .size:           2
        .value_kind:     hidden_remainder_z
      - .offset:         48
        .size:           8
        .value_kind:     hidden_global_offset_x
      - .offset:         56
        .size:           8
        .value_kind:     hidden_global_offset_y
      - .offset:         64
        .size:           8
        .value_kind:     hidden_global_offset_z
      - .offset:         72
        .size:           2
        .value_kind:     hidden_grid_dims
    .group_segment_fixed_size: 0
    .kernarg_segment_align: 8
    .kernarg_segment_size: 264
    .language:       OpenCL C
    .language_version:
      - 2
      - 0
    .max_flat_workgroup_size: 1024
    .name:           _Z14flat_id_kernelILj32ELj2ELj1EEvPj
    .private_segment_fixed_size: 0
    .sgpr_count:     10
    .sgpr_spill_count: 0
    .symbol:         _Z14flat_id_kernelILj32ELj2ELj1EEvPj.kd
    .uniform_work_group_size: 1
    .uses_dynamic_stack: false
    .vgpr_count:     2
    .vgpr_spill_count: 0
    .wavefront_size: 64
  - .args:
      - .address_space:  global
        .offset:         0
        .size:           8
        .value_kind:     global_buffer
      - .offset:         8
        .size:           4
        .value_kind:     hidden_block_count_x
      - .offset:         12
        .size:           4
        .value_kind:     hidden_block_count_y
      - .offset:         16
        .size:           4
        .value_kind:     hidden_block_count_z
      - .offset:         20
        .size:           2
        .value_kind:     hidden_group_size_x
      - .offset:         22
        .size:           2
        .value_kind:     hidden_group_size_y
      - .offset:         24
        .size:           2
        .value_kind:     hidden_group_size_z
      - .offset:         26
        .size:           2
        .value_kind:     hidden_remainder_x
      - .offset:         28
        .size:           2
        .value_kind:     hidden_remainder_y
      - .offset:         30
        .size:           2
        .value_kind:     hidden_remainder_z
      - .offset:         48
        .size:           8
        .value_kind:     hidden_global_offset_x
      - .offset:         56
        .size:           8
        .value_kind:     hidden_global_offset_y
      - .offset:         64
        .size:           8
        .value_kind:     hidden_global_offset_z
      - .offset:         72
        .size:           2
        .value_kind:     hidden_grid_dims
    .group_segment_fixed_size: 0
    .kernarg_segment_align: 8
    .kernarg_segment_size: 264
    .language:       OpenCL C
    .language_version:
      - 2
      - 0
    .max_flat_workgroup_size: 1024
    .name:           _Z14flat_id_kernelILj16ELj2ELj1EEvPj
    .private_segment_fixed_size: 0
    .sgpr_count:     10
    .sgpr_spill_count: 0
    .symbol:         _Z14flat_id_kernelILj16ELj2ELj1EEvPj.kd
    .uniform_work_group_size: 1
    .uses_dynamic_stack: false
    .vgpr_count:     2
    .vgpr_spill_count: 0
    .wavefront_size: 64
  - .args:
      - .address_space:  global
        .offset:         0
        .size:           8
        .value_kind:     global_buffer
    .group_segment_fixed_size: 0
    .kernarg_segment_align: 8
    .kernarg_segment_size: 8
    .language:       OpenCL C
    .language_version:
      - 2
      - 0
    .max_flat_workgroup_size: 1024
    .name:           _Z14flat_id_kernelILj1024ELj1ELj1EEvPj
    .private_segment_fixed_size: 0
    .sgpr_count:     10
    .sgpr_spill_count: 0
    .symbol:         _Z14flat_id_kernelILj1024ELj1ELj1EEvPj.kd
    .uniform_work_group_size: 1
    .uses_dynamic_stack: false
    .vgpr_count:     2
    .vgpr_spill_count: 0
    .wavefront_size: 64
  - .args:
      - .address_space:  global
        .offset:         0
        .size:           8
        .value_kind:     global_buffer
    .group_segment_fixed_size: 0
    .kernarg_segment_align: 8
    .kernarg_segment_size: 8
    .language:       OpenCL C
    .language_version:
      - 2
      - 0
    .max_flat_workgroup_size: 1024
    .name:           _Z14flat_id_kernelILj512ELj1ELj1EEvPj
    .private_segment_fixed_size: 0
    .sgpr_count:     10
    .sgpr_spill_count: 0
    .symbol:         _Z14flat_id_kernelILj512ELj1ELj1EEvPj.kd
    .uniform_work_group_size: 1
    .uses_dynamic_stack: false
    .vgpr_count:     2
    .vgpr_spill_count: 0
    .wavefront_size: 64
  - .args:
      - .address_space:  global
        .offset:         0
        .size:           8
        .value_kind:     global_buffer
    .group_segment_fixed_size: 0
    .kernarg_segment_align: 8
    .kernarg_segment_size: 8
    .language:       OpenCL C
    .language_version:
      - 2
      - 0
    .max_flat_workgroup_size: 1024
    .name:           _Z14flat_id_kernelILj256ELj1ELj1EEvPj
    .private_segment_fixed_size: 0
    .sgpr_count:     10
    .sgpr_spill_count: 0
    .symbol:         _Z14flat_id_kernelILj256ELj1ELj1EEvPj.kd
    .uniform_work_group_size: 1
    .uses_dynamic_stack: false
    .vgpr_count:     2
    .vgpr_spill_count: 0
    .wavefront_size: 64
  - .args:
      - .address_space:  global
        .offset:         0
        .size:           8
        .value_kind:     global_buffer
    .group_segment_fixed_size: 0
    .kernarg_segment_align: 8
    .kernarg_segment_size: 8
    .language:       OpenCL C
    .language_version:
      - 2
      - 0
    .max_flat_workgroup_size: 1024
    .name:           _Z14flat_id_kernelILj128ELj1ELj1EEvPj
    .private_segment_fixed_size: 0
    .sgpr_count:     10
    .sgpr_spill_count: 0
    .symbol:         _Z14flat_id_kernelILj128ELj1ELj1EEvPj.kd
    .uniform_work_group_size: 1
    .uses_dynamic_stack: false
    .vgpr_count:     2
    .vgpr_spill_count: 0
    .wavefront_size: 64
  - .args:
      - .address_space:  global
        .offset:         0
        .size:           8
        .value_kind:     global_buffer
    .group_segment_fixed_size: 0
    .kernarg_segment_align: 8
    .kernarg_segment_size: 8
    .language:       OpenCL C
    .language_version:
      - 2
      - 0
    .max_flat_workgroup_size: 1024
    .name:           _Z14flat_id_kernelILj64ELj1ELj1EEvPj
    .private_segment_fixed_size: 0
    .sgpr_count:     10
    .sgpr_spill_count: 0
    .symbol:         _Z14flat_id_kernelILj64ELj1ELj1EEvPj.kd
    .uniform_work_group_size: 1
    .uses_dynamic_stack: false
    .vgpr_count:     2
    .vgpr_spill_count: 0
    .wavefront_size: 64
  - .args:
      - .address_space:  global
        .offset:         0
        .size:           8
        .value_kind:     global_buffer
    .group_segment_fixed_size: 0
    .kernarg_segment_align: 8
    .kernarg_segment_size: 8
    .language:       OpenCL C
    .language_version:
      - 2
      - 0
    .max_flat_workgroup_size: 1024
    .name:           _Z14flat_id_kernelILj32ELj1ELj1EEvPj
    .private_segment_fixed_size: 0
    .sgpr_count:     10
    .sgpr_spill_count: 0
    .symbol:         _Z14flat_id_kernelILj32ELj1ELj1EEvPj.kd
    .uniform_work_group_size: 1
    .uses_dynamic_stack: false
    .vgpr_count:     2
    .vgpr_spill_count: 0
    .wavefront_size: 64
  - .args:
      - .address_space:  global
        .offset:         0
        .size:           8
        .value_kind:     global_buffer
      - .offset:         8
        .size:           4
        .value_kind:     hidden_block_count_x
      - .offset:         12
        .size:           4
        .value_kind:     hidden_block_count_y
      - .offset:         16
        .size:           4
        .value_kind:     hidden_block_count_z
      - .offset:         20
        .size:           2
        .value_kind:     hidden_group_size_x
      - .offset:         22
        .size:           2
        .value_kind:     hidden_group_size_y
      - .offset:         24
        .size:           2
        .value_kind:     hidden_group_size_z
      - .offset:         26
        .size:           2
        .value_kind:     hidden_remainder_x
      - .offset:         28
        .size:           2
        .value_kind:     hidden_remainder_y
      - .offset:         30
        .size:           2
        .value_kind:     hidden_remainder_z
      - .offset:         48
        .size:           8
        .value_kind:     hidden_global_offset_x
      - .offset:         56
        .size:           8
        .value_kind:     hidden_global_offset_y
      - .offset:         64
        .size:           8
        .value_kind:     hidden_global_offset_z
      - .offset:         72
        .size:           2
        .value_kind:     hidden_grid_dims
    .group_segment_fixed_size: 0
    .kernarg_segment_align: 8
    .kernarg_segment_size: 264
    .language:       OpenCL C
    .language_version:
      - 2
      - 0
    .max_flat_workgroup_size: 1024
    .name:           _Z15block_id_kernelILj256ELj2ELj2EEvPj
    .private_segment_fixed_size: 0
    .sgpr_count:     20
    .sgpr_spill_count: 0
    .symbol:         _Z15block_id_kernelILj256ELj2ELj2EEvPj.kd
    .uniform_work_group_size: 1
    .uses_dynamic_stack: false
    .vgpr_count:     2
    .vgpr_spill_count: 0
    .wavefront_size: 64
  - .args:
      - .address_space:  global
        .offset:         0
        .size:           8
        .value_kind:     global_buffer
      - .offset:         8
        .size:           4
        .value_kind:     hidden_block_count_x
      - .offset:         12
        .size:           4
        .value_kind:     hidden_block_count_y
      - .offset:         16
        .size:           4
        .value_kind:     hidden_block_count_z
      - .offset:         20
        .size:           2
        .value_kind:     hidden_group_size_x
      - .offset:         22
        .size:           2
        .value_kind:     hidden_group_size_y
      - .offset:         24
        .size:           2
        .value_kind:     hidden_group_size_z
      - .offset:         26
        .size:           2
        .value_kind:     hidden_remainder_x
      - .offset:         28
        .size:           2
        .value_kind:     hidden_remainder_y
      - .offset:         30
        .size:           2
        .value_kind:     hidden_remainder_z
      - .offset:         48
        .size:           8
        .value_kind:     hidden_global_offset_x
      - .offset:         56
        .size:           8
        .value_kind:     hidden_global_offset_y
      - .offset:         64
        .size:           8
        .value_kind:     hidden_global_offset_z
      - .offset:         72
        .size:           2
        .value_kind:     hidden_grid_dims
    .group_segment_fixed_size: 0
    .kernarg_segment_align: 8
    .kernarg_segment_size: 264
    .language:       OpenCL C
    .language_version:
      - 2
      - 0
    .max_flat_workgroup_size: 1024
    .name:           _Z15block_id_kernelILj128ELj2ELj2EEvPj
    .private_segment_fixed_size: 0
    .sgpr_count:     20
    .sgpr_spill_count: 0
    .symbol:         _Z15block_id_kernelILj128ELj2ELj2EEvPj.kd
    .uniform_work_group_size: 1
    .uses_dynamic_stack: false
    .vgpr_count:     2
    .vgpr_spill_count: 0
    .wavefront_size: 64
  - .args:
      - .address_space:  global
        .offset:         0
        .size:           8
        .value_kind:     global_buffer
      - .offset:         8
        .size:           4
        .value_kind:     hidden_block_count_x
      - .offset:         12
        .size:           4
        .value_kind:     hidden_block_count_y
      - .offset:         16
        .size:           4
        .value_kind:     hidden_block_count_z
      - .offset:         20
        .size:           2
        .value_kind:     hidden_group_size_x
      - .offset:         22
        .size:           2
        .value_kind:     hidden_group_size_y
      - .offset:         24
        .size:           2
        .value_kind:     hidden_group_size_z
      - .offset:         26
        .size:           2
        .value_kind:     hidden_remainder_x
      - .offset:         28
        .size:           2
        .value_kind:     hidden_remainder_y
      - .offset:         30
        .size:           2
        .value_kind:     hidden_remainder_z
      - .offset:         48
        .size:           8
        .value_kind:     hidden_global_offset_x
      - .offset:         56
        .size:           8
        .value_kind:     hidden_global_offset_y
      - .offset:         64
        .size:           8
        .value_kind:     hidden_global_offset_z
      - .offset:         72
        .size:           2
        .value_kind:     hidden_grid_dims
    .group_segment_fixed_size: 0
    .kernarg_segment_align: 8
    .kernarg_segment_size: 264
    .language:       OpenCL C
    .language_version:
      - 2
      - 0
    .max_flat_workgroup_size: 1024
    .name:           _Z15block_id_kernelILj64ELj2ELj2EEvPj
    .private_segment_fixed_size: 0
    .sgpr_count:     20
    .sgpr_spill_count: 0
    .symbol:         _Z15block_id_kernelILj64ELj2ELj2EEvPj.kd
    .uniform_work_group_size: 1
    .uses_dynamic_stack: false
    .vgpr_count:     2
    .vgpr_spill_count: 0
    .wavefront_size: 64
  - .args:
      - .address_space:  global
        .offset:         0
        .size:           8
        .value_kind:     global_buffer
      - .offset:         8
        .size:           4
        .value_kind:     hidden_block_count_x
      - .offset:         12
        .size:           4
        .value_kind:     hidden_block_count_y
      - .offset:         16
        .size:           4
        .value_kind:     hidden_block_count_z
      - .offset:         20
        .size:           2
        .value_kind:     hidden_group_size_x
      - .offset:         22
        .size:           2
        .value_kind:     hidden_group_size_y
      - .offset:         24
        .size:           2
        .value_kind:     hidden_group_size_z
      - .offset:         26
        .size:           2
        .value_kind:     hidden_remainder_x
      - .offset:         28
        .size:           2
        .value_kind:     hidden_remainder_y
      - .offset:         30
        .size:           2
        .value_kind:     hidden_remainder_z
      - .offset:         48
        .size:           8
        .value_kind:     hidden_global_offset_x
      - .offset:         56
        .size:           8
        .value_kind:     hidden_global_offset_y
      - .offset:         64
        .size:           8
        .value_kind:     hidden_global_offset_z
      - .offset:         72
        .size:           2
        .value_kind:     hidden_grid_dims
    .group_segment_fixed_size: 0
    .kernarg_segment_align: 8
    .kernarg_segment_size: 264
    .language:       OpenCL C
    .language_version:
      - 2
      - 0
    .max_flat_workgroup_size: 1024
    .name:           _Z15block_id_kernelILj32ELj2ELj2EEvPj
    .private_segment_fixed_size: 0
    .sgpr_count:     20
    .sgpr_spill_count: 0
    .symbol:         _Z15block_id_kernelILj32ELj2ELj2EEvPj.kd
    .uniform_work_group_size: 1
    .uses_dynamic_stack: false
    .vgpr_count:     2
    .vgpr_spill_count: 0
    .wavefront_size: 64
  - .args:
      - .address_space:  global
        .offset:         0
        .size:           8
        .value_kind:     global_buffer
      - .offset:         8
        .size:           4
        .value_kind:     hidden_block_count_x
      - .offset:         12
        .size:           4
        .value_kind:     hidden_block_count_y
      - .offset:         16
        .size:           4
        .value_kind:     hidden_block_count_z
      - .offset:         20
        .size:           2
        .value_kind:     hidden_group_size_x
      - .offset:         22
        .size:           2
        .value_kind:     hidden_group_size_y
      - .offset:         24
        .size:           2
        .value_kind:     hidden_group_size_z
      - .offset:         26
        .size:           2
        .value_kind:     hidden_remainder_x
      - .offset:         28
        .size:           2
        .value_kind:     hidden_remainder_y
      - .offset:         30
        .size:           2
        .value_kind:     hidden_remainder_z
      - .offset:         48
        .size:           8
        .value_kind:     hidden_global_offset_x
      - .offset:         56
        .size:           8
        .value_kind:     hidden_global_offset_y
      - .offset:         64
        .size:           8
        .value_kind:     hidden_global_offset_z
      - .offset:         72
        .size:           2
        .value_kind:     hidden_grid_dims
    .group_segment_fixed_size: 0
    .kernarg_segment_align: 8
    .kernarg_segment_size: 264
    .language:       OpenCL C
    .language_version:
      - 2
      - 0
    .max_flat_workgroup_size: 1024
    .name:           _Z15block_id_kernelILj16ELj2ELj2EEvPj
    .private_segment_fixed_size: 0
    .sgpr_count:     20
    .sgpr_spill_count: 0
    .symbol:         _Z15block_id_kernelILj16ELj2ELj2EEvPj.kd
    .uniform_work_group_size: 1
    .uses_dynamic_stack: false
    .vgpr_count:     2
    .vgpr_spill_count: 0
    .wavefront_size: 64
  - .args:
      - .address_space:  global
        .offset:         0
        .size:           8
        .value_kind:     global_buffer
      - .offset:         8
        .size:           4
        .value_kind:     hidden_block_count_x
      - .offset:         12
        .size:           4
        .value_kind:     hidden_block_count_y
      - .offset:         16
        .size:           4
        .value_kind:     hidden_block_count_z
      - .offset:         20
        .size:           2
        .value_kind:     hidden_group_size_x
      - .offset:         22
        .size:           2
        .value_kind:     hidden_group_size_y
      - .offset:         24
        .size:           2
        .value_kind:     hidden_group_size_z
      - .offset:         26
        .size:           2
        .value_kind:     hidden_remainder_x
      - .offset:         28
        .size:           2
        .value_kind:     hidden_remainder_y
      - .offset:         30
        .size:           2
        .value_kind:     hidden_remainder_z
      - .offset:         48
        .size:           8
        .value_kind:     hidden_global_offset_x
      - .offset:         56
        .size:           8
        .value_kind:     hidden_global_offset_y
      - .offset:         64
        .size:           8
        .value_kind:     hidden_global_offset_z
      - .offset:         72
        .size:           2
        .value_kind:     hidden_grid_dims
    .group_segment_fixed_size: 0
    .kernarg_segment_align: 8
    .kernarg_segment_size: 264
    .language:       OpenCL C
    .language_version:
      - 2
      - 0
    .max_flat_workgroup_size: 1024
    .name:           _Z15block_id_kernelILj8ELj2ELj2EEvPj
    .private_segment_fixed_size: 0
    .sgpr_count:     20
    .sgpr_spill_count: 0
    .symbol:         _Z15block_id_kernelILj8ELj2ELj2EEvPj.kd
    .uniform_work_group_size: 1
    .uses_dynamic_stack: false
    .vgpr_count:     2
    .vgpr_spill_count: 0
    .wavefront_size: 64
  - .args:
      - .address_space:  global
        .offset:         0
        .size:           8
        .value_kind:     global_buffer
      - .offset:         8
        .size:           4
        .value_kind:     hidden_block_count_x
      - .offset:         12
        .size:           4
        .value_kind:     hidden_block_count_y
      - .offset:         16
        .size:           4
        .value_kind:     hidden_block_count_z
      - .offset:         20
        .size:           2
        .value_kind:     hidden_group_size_x
      - .offset:         22
        .size:           2
        .value_kind:     hidden_group_size_y
      - .offset:         24
        .size:           2
        .value_kind:     hidden_group_size_z
      - .offset:         26
        .size:           2
        .value_kind:     hidden_remainder_x
      - .offset:         28
        .size:           2
        .value_kind:     hidden_remainder_y
      - .offset:         30
        .size:           2
        .value_kind:     hidden_remainder_z
      - .offset:         48
        .size:           8
        .value_kind:     hidden_global_offset_x
      - .offset:         56
        .size:           8
        .value_kind:     hidden_global_offset_y
      - .offset:         64
        .size:           8
        .value_kind:     hidden_global_offset_z
      - .offset:         72
        .size:           2
        .value_kind:     hidden_grid_dims
    .group_segment_fixed_size: 0
    .kernarg_segment_align: 8
    .kernarg_segment_size: 264
    .language:       OpenCL C
    .language_version:
      - 2
      - 0
    .max_flat_workgroup_size: 1024
    .name:           _Z15block_id_kernelILj512ELj2ELj1EEvPj
    .private_segment_fixed_size: 0
    .sgpr_count:     12
    .sgpr_spill_count: 0
    .symbol:         _Z15block_id_kernelILj512ELj2ELj1EEvPj.kd
    .uniform_work_group_size: 1
    .uses_dynamic_stack: false
    .vgpr_count:     2
    .vgpr_spill_count: 0
    .wavefront_size: 64
  - .args:
      - .address_space:  global
        .offset:         0
        .size:           8
        .value_kind:     global_buffer
      - .offset:         8
        .size:           4
        .value_kind:     hidden_block_count_x
      - .offset:         12
        .size:           4
        .value_kind:     hidden_block_count_y
      - .offset:         16
        .size:           4
        .value_kind:     hidden_block_count_z
      - .offset:         20
        .size:           2
        .value_kind:     hidden_group_size_x
      - .offset:         22
        .size:           2
        .value_kind:     hidden_group_size_y
      - .offset:         24
        .size:           2
        .value_kind:     hidden_group_size_z
      - .offset:         26
        .size:           2
        .value_kind:     hidden_remainder_x
      - .offset:         28
        .size:           2
        .value_kind:     hidden_remainder_y
      - .offset:         30
        .size:           2
        .value_kind:     hidden_remainder_z
      - .offset:         48
        .size:           8
        .value_kind:     hidden_global_offset_x
      - .offset:         56
        .size:           8
        .value_kind:     hidden_global_offset_y
      - .offset:         64
        .size:           8
        .value_kind:     hidden_global_offset_z
      - .offset:         72
        .size:           2
        .value_kind:     hidden_grid_dims
    .group_segment_fixed_size: 0
    .kernarg_segment_align: 8
    .kernarg_segment_size: 264
    .language:       OpenCL C
    .language_version:
      - 2
      - 0
    .max_flat_workgroup_size: 1024
    .name:           _Z15block_id_kernelILj256ELj2ELj1EEvPj
    .private_segment_fixed_size: 0
    .sgpr_count:     12
    .sgpr_spill_count: 0
    .symbol:         _Z15block_id_kernelILj256ELj2ELj1EEvPj.kd
    .uniform_work_group_size: 1
    .uses_dynamic_stack: false
    .vgpr_count:     2
    .vgpr_spill_count: 0
    .wavefront_size: 64
  - .args:
      - .address_space:  global
        .offset:         0
        .size:           8
        .value_kind:     global_buffer
      - .offset:         8
        .size:           4
        .value_kind:     hidden_block_count_x
      - .offset:         12
        .size:           4
        .value_kind:     hidden_block_count_y
      - .offset:         16
        .size:           4
        .value_kind:     hidden_block_count_z
      - .offset:         20
        .size:           2
        .value_kind:     hidden_group_size_x
      - .offset:         22
        .size:           2
        .value_kind:     hidden_group_size_y
      - .offset:         24
        .size:           2
        .value_kind:     hidden_group_size_z
      - .offset:         26
        .size:           2
        .value_kind:     hidden_remainder_x
      - .offset:         28
        .size:           2
        .value_kind:     hidden_remainder_y
      - .offset:         30
        .size:           2
        .value_kind:     hidden_remainder_z
      - .offset:         48
        .size:           8
        .value_kind:     hidden_global_offset_x
      - .offset:         56
        .size:           8
        .value_kind:     hidden_global_offset_y
      - .offset:         64
        .size:           8
        .value_kind:     hidden_global_offset_z
      - .offset:         72
        .size:           2
        .value_kind:     hidden_grid_dims
    .group_segment_fixed_size: 0
    .kernarg_segment_align: 8
    .kernarg_segment_size: 264
    .language:       OpenCL C
    .language_version:
      - 2
      - 0
    .max_flat_workgroup_size: 1024
    .name:           _Z15block_id_kernelILj128ELj2ELj1EEvPj
    .private_segment_fixed_size: 0
    .sgpr_count:     12
    .sgpr_spill_count: 0
    .symbol:         _Z15block_id_kernelILj128ELj2ELj1EEvPj.kd
    .uniform_work_group_size: 1
    .uses_dynamic_stack: false
    .vgpr_count:     2
    .vgpr_spill_count: 0
    .wavefront_size: 64
  - .args:
      - .address_space:  global
        .offset:         0
        .size:           8
        .value_kind:     global_buffer
      - .offset:         8
        .size:           4
        .value_kind:     hidden_block_count_x
      - .offset:         12
        .size:           4
        .value_kind:     hidden_block_count_y
      - .offset:         16
        .size:           4
        .value_kind:     hidden_block_count_z
      - .offset:         20
        .size:           2
        .value_kind:     hidden_group_size_x
      - .offset:         22
        .size:           2
        .value_kind:     hidden_group_size_y
      - .offset:         24
        .size:           2
        .value_kind:     hidden_group_size_z
      - .offset:         26
        .size:           2
        .value_kind:     hidden_remainder_x
      - .offset:         28
        .size:           2
        .value_kind:     hidden_remainder_y
      - .offset:         30
        .size:           2
        .value_kind:     hidden_remainder_z
      - .offset:         48
        .size:           8
        .value_kind:     hidden_global_offset_x
      - .offset:         56
        .size:           8
        .value_kind:     hidden_global_offset_y
      - .offset:         64
        .size:           8
        .value_kind:     hidden_global_offset_z
      - .offset:         72
        .size:           2
        .value_kind:     hidden_grid_dims
    .group_segment_fixed_size: 0
    .kernarg_segment_align: 8
    .kernarg_segment_size: 264
    .language:       OpenCL C
    .language_version:
      - 2
      - 0
    .max_flat_workgroup_size: 1024
    .name:           _Z15block_id_kernelILj64ELj2ELj1EEvPj
    .private_segment_fixed_size: 0
    .sgpr_count:     12
    .sgpr_spill_count: 0
    .symbol:         _Z15block_id_kernelILj64ELj2ELj1EEvPj.kd
    .uniform_work_group_size: 1
    .uses_dynamic_stack: false
    .vgpr_count:     2
    .vgpr_spill_count: 0
    .wavefront_size: 64
  - .args:
      - .address_space:  global
        .offset:         0
        .size:           8
        .value_kind:     global_buffer
      - .offset:         8
        .size:           4
        .value_kind:     hidden_block_count_x
      - .offset:         12
        .size:           4
        .value_kind:     hidden_block_count_y
      - .offset:         16
        .size:           4
        .value_kind:     hidden_block_count_z
      - .offset:         20
        .size:           2
        .value_kind:     hidden_group_size_x
      - .offset:         22
        .size:           2
        .value_kind:     hidden_group_size_y
      - .offset:         24
        .size:           2
        .value_kind:     hidden_group_size_z
      - .offset:         26
        .size:           2
        .value_kind:     hidden_remainder_x
      - .offset:         28
        .size:           2
        .value_kind:     hidden_remainder_y
      - .offset:         30
        .size:           2
        .value_kind:     hidden_remainder_z
      - .offset:         48
        .size:           8
        .value_kind:     hidden_global_offset_x
      - .offset:         56
        .size:           8
        .value_kind:     hidden_global_offset_y
      - .offset:         64
        .size:           8
        .value_kind:     hidden_global_offset_z
      - .offset:         72
        .size:           2
        .value_kind:     hidden_grid_dims
    .group_segment_fixed_size: 0
    .kernarg_segment_align: 8
    .kernarg_segment_size: 264
    .language:       OpenCL C
    .language_version:
      - 2
      - 0
    .max_flat_workgroup_size: 1024
    .name:           _Z15block_id_kernelILj32ELj2ELj1EEvPj
    .private_segment_fixed_size: 0
    .sgpr_count:     12
    .sgpr_spill_count: 0
    .symbol:         _Z15block_id_kernelILj32ELj2ELj1EEvPj.kd
    .uniform_work_group_size: 1
    .uses_dynamic_stack: false
    .vgpr_count:     2
    .vgpr_spill_count: 0
    .wavefront_size: 64
  - .args:
      - .address_space:  global
        .offset:         0
        .size:           8
        .value_kind:     global_buffer
      - .offset:         8
        .size:           4
        .value_kind:     hidden_block_count_x
      - .offset:         12
        .size:           4
        .value_kind:     hidden_block_count_y
      - .offset:         16
        .size:           4
        .value_kind:     hidden_block_count_z
      - .offset:         20
        .size:           2
        .value_kind:     hidden_group_size_x
      - .offset:         22
        .size:           2
        .value_kind:     hidden_group_size_y
      - .offset:         24
        .size:           2
        .value_kind:     hidden_group_size_z
      - .offset:         26
        .size:           2
        .value_kind:     hidden_remainder_x
      - .offset:         28
        .size:           2
        .value_kind:     hidden_remainder_y
      - .offset:         30
        .size:           2
        .value_kind:     hidden_remainder_z
      - .offset:         48
        .size:           8
        .value_kind:     hidden_global_offset_x
      - .offset:         56
        .size:           8
        .value_kind:     hidden_global_offset_y
      - .offset:         64
        .size:           8
        .value_kind:     hidden_global_offset_z
      - .offset:         72
        .size:           2
        .value_kind:     hidden_grid_dims
    .group_segment_fixed_size: 0
    .kernarg_segment_align: 8
    .kernarg_segment_size: 264
    .language:       OpenCL C
    .language_version:
      - 2
      - 0
    .max_flat_workgroup_size: 1024
    .name:           _Z15block_id_kernelILj16ELj2ELj1EEvPj
    .private_segment_fixed_size: 0
    .sgpr_count:     12
    .sgpr_spill_count: 0
    .symbol:         _Z15block_id_kernelILj16ELj2ELj1EEvPj.kd
    .uniform_work_group_size: 1
    .uses_dynamic_stack: false
    .vgpr_count:     2
    .vgpr_spill_count: 0
    .wavefront_size: 64
  - .args:
      - .address_space:  global
        .offset:         0
        .size:           8
        .value_kind:     global_buffer
    .group_segment_fixed_size: 0
    .kernarg_segment_align: 8
    .kernarg_segment_size: 8
    .language:       OpenCL C
    .language_version:
      - 2
      - 0
    .max_flat_workgroup_size: 1024
    .name:           _Z15block_id_kernelILj1024ELj1ELj1EEvPj
    .private_segment_fixed_size: 0
    .sgpr_count:     12
    .sgpr_spill_count: 0
    .symbol:         _Z15block_id_kernelILj1024ELj1ELj1EEvPj.kd
    .uniform_work_group_size: 1
    .uses_dynamic_stack: false
    .vgpr_count:     2
    .vgpr_spill_count: 0
    .wavefront_size: 64
  - .args:
      - .address_space:  global
        .offset:         0
        .size:           8
        .value_kind:     global_buffer
    .group_segment_fixed_size: 0
    .kernarg_segment_align: 8
    .kernarg_segment_size: 8
    .language:       OpenCL C
    .language_version:
      - 2
      - 0
    .max_flat_workgroup_size: 1024
    .name:           _Z15block_id_kernelILj512ELj1ELj1EEvPj
    .private_segment_fixed_size: 0
    .sgpr_count:     12
    .sgpr_spill_count: 0
    .symbol:         _Z15block_id_kernelILj512ELj1ELj1EEvPj.kd
    .uniform_work_group_size: 1
    .uses_dynamic_stack: false
    .vgpr_count:     2
    .vgpr_spill_count: 0
    .wavefront_size: 64
  - .args:
      - .address_space:  global
        .offset:         0
        .size:           8
        .value_kind:     global_buffer
    .group_segment_fixed_size: 0
    .kernarg_segment_align: 8
    .kernarg_segment_size: 8
    .language:       OpenCL C
    .language_version:
      - 2
      - 0
    .max_flat_workgroup_size: 1024
    .name:           _Z15block_id_kernelILj256ELj1ELj1EEvPj
    .private_segment_fixed_size: 0
    .sgpr_count:     12
    .sgpr_spill_count: 0
    .symbol:         _Z15block_id_kernelILj256ELj1ELj1EEvPj.kd
    .uniform_work_group_size: 1
    .uses_dynamic_stack: false
    .vgpr_count:     2
    .vgpr_spill_count: 0
    .wavefront_size: 64
  - .args:
      - .address_space:  global
        .offset:         0
        .size:           8
        .value_kind:     global_buffer
    .group_segment_fixed_size: 0
    .kernarg_segment_align: 8
    .kernarg_segment_size: 8
    .language:       OpenCL C
    .language_version:
      - 2
      - 0
    .max_flat_workgroup_size: 1024
    .name:           _Z15block_id_kernelILj128ELj1ELj1EEvPj
    .private_segment_fixed_size: 0
    .sgpr_count:     12
    .sgpr_spill_count: 0
    .symbol:         _Z15block_id_kernelILj128ELj1ELj1EEvPj.kd
    .uniform_work_group_size: 1
    .uses_dynamic_stack: false
    .vgpr_count:     2
    .vgpr_spill_count: 0
    .wavefront_size: 64
  - .args:
      - .address_space:  global
        .offset:         0
        .size:           8
        .value_kind:     global_buffer
    .group_segment_fixed_size: 0
    .kernarg_segment_align: 8
    .kernarg_segment_size: 8
    .language:       OpenCL C
    .language_version:
      - 2
      - 0
    .max_flat_workgroup_size: 1024
    .name:           _Z15block_id_kernelILj64ELj1ELj1EEvPj
    .private_segment_fixed_size: 0
    .sgpr_count:     12
    .sgpr_spill_count: 0
    .symbol:         _Z15block_id_kernelILj64ELj1ELj1EEvPj.kd
    .uniform_work_group_size: 1
    .uses_dynamic_stack: false
    .vgpr_count:     2
    .vgpr_spill_count: 0
    .wavefront_size: 64
  - .args:
      - .address_space:  global
        .offset:         0
        .size:           8
        .value_kind:     global_buffer
    .group_segment_fixed_size: 0
    .kernarg_segment_align: 8
    .kernarg_segment_size: 8
    .language:       OpenCL C
    .language_version:
      - 2
      - 0
    .max_flat_workgroup_size: 1024
    .name:           _Z15block_id_kernelILj32ELj1ELj1EEvPj
    .private_segment_fixed_size: 0
    .sgpr_count:     12
    .sgpr_spill_count: 0
    .symbol:         _Z15block_id_kernelILj32ELj1ELj1EEvPj.kd
    .uniform_work_group_size: 1
    .uses_dynamic_stack: false
    .vgpr_count:     2
    .vgpr_spill_count: 0
    .wavefront_size: 64
amdhsa.target:   amdgcn-amd-amdhsa--gfx906
amdhsa.version:
  - 1
  - 2
...

	.end_amdgpu_metadata
